;; amdgpu-corpus repo=ROCm/rocFFT kind=compiled arch=gfx1030 opt=O3
	.text
	.amdgcn_target "amdgcn-amd-amdhsa--gfx1030"
	.amdhsa_code_object_version 6
	.protected	bluestein_single_fwd_len1452_dim1_half_op_CI_CI ; -- Begin function bluestein_single_fwd_len1452_dim1_half_op_CI_CI
	.globl	bluestein_single_fwd_len1452_dim1_half_op_CI_CI
	.p2align	8
	.type	bluestein_single_fwd_len1452_dim1_half_op_CI_CI,@function
bluestein_single_fwd_len1452_dim1_half_op_CI_CI: ; @bluestein_single_fwd_len1452_dim1_half_op_CI_CI
; %bb.0:
	s_load_dwordx4 s[12:15], s[4:5], 0x28
	v_mul_u32_u24_e32 v1, 0x1f1, v0
	v_mov_b32_e32 v18, 0
	s_mov_b32 s0, exec_lo
	v_lshrrev_b32_e32 v1, 16, v1
	v_add_nc_u32_e32 v17, s6, v1
	s_waitcnt lgkmcnt(0)
	v_cmpx_gt_u64_e64 s[12:13], v[17:18]
	s_cbranch_execz .LBB0_18
; %bb.1:
	s_clause 0x1
	s_load_dwordx4 s[8:11], s[4:5], 0x18
	s_load_dwordx4 s[0:3], s[4:5], 0x0
	v_mul_lo_u16 v1, 0x84, v1
	v_mov_b32_e32 v14, 0xb853
	v_mov_b32_e32 v15, 0xbbeb
	s_load_dwordx2 s[4:5], s[4:5], 0x38
	v_sub_nc_u16 v10, v0, v1
	v_and_b32_e32 v47, 0xffff, v10
	v_lshlrev_b32_e32 v38, 2, v47
	s_waitcnt lgkmcnt(0)
	s_load_dwordx4 s[16:19], s[8:9], 0x0
	s_clause 0x3
	global_load_dword v49, v38, s[0:1]
	global_load_dword v50, v38, s[0:1] offset:528
	global_load_dword v48, v38, s[0:1] offset:1056
	global_load_dword v46, v38, s[0:1] offset:1584
	v_add_co_u32 v51, s6, s0, v38
	v_add_co_ci_u32_e64 v52, null, s1, 0, s6
	v_add_nc_u32_e32 v12, 0x400, v38
	v_add_nc_u32_e32 v11, 0x800, v38
	;; [unrolled: 1-line block ×3, first 2 shown]
	s_waitcnt lgkmcnt(0)
	v_mad_u64_u32 v[0:1], null, s18, v17, 0
	v_mad_u64_u32 v[2:3], null, s16, v47, 0
	s_mul_i32 s0, s17, 0x210
	s_mul_hi_u32 s1, s16, 0x210
	s_mul_i32 s6, s16, 0x210
	s_add_i32 s1, s1, s0
	v_mad_u64_u32 v[4:5], null, s19, v17, v[1:2]
	v_mad_u64_u32 v[5:6], null, s17, v47, v[3:4]
	v_mov_b32_e32 v1, v4
	v_add_co_u32 v4, vcc_lo, 0x800, v51
	v_lshlrev_b64 v[0:1], 2, v[0:1]
	v_mov_b32_e32 v3, v5
	v_add_co_ci_u32_e32 v5, vcc_lo, 0, v52, vcc_lo
	v_lshlrev_b64 v[2:3], 2, v[2:3]
	v_add_co_u32 v0, vcc_lo, s14, v0
	v_add_co_ci_u32_e32 v1, vcc_lo, s15, v1, vcc_lo
	v_add_co_u32 v0, vcc_lo, v0, v2
	v_add_co_ci_u32_e32 v1, vcc_lo, v1, v3, vcc_lo
	;; [unrolled: 2-line block ×3, first 2 shown]
	s_clause 0x1
	global_load_dword v6, v[0:1], off
	global_load_dword v7, v[2:3], off
	v_add_co_u32 v0, vcc_lo, v2, s6
	v_add_co_ci_u32_e32 v1, vcc_lo, s1, v3, vcc_lo
	v_add_co_u32 v2, vcc_lo, v0, s6
	v_add_co_ci_u32_e32 v3, vcc_lo, s1, v1, vcc_lo
	global_load_dword v8, v[0:1], off
	v_add_co_u32 v0, vcc_lo, v2, s6
	v_add_co_ci_u32_e32 v1, vcc_lo, s1, v3, vcc_lo
	v_add_co_u32 v18, vcc_lo, 0x1000, v51
	v_add_co_ci_u32_e32 v19, vcc_lo, 0, v52, vcc_lo
	s_clause 0x1
	global_load_dword v9, v[2:3], off
	global_load_dword v13, v[0:1], off
	v_add_co_u32 v0, vcc_lo, v0, s6
	v_add_co_ci_u32_e32 v1, vcc_lo, s1, v1, vcc_lo
	s_clause 0x3
	global_load_dword v45, v[4:5], off offset:64
	global_load_dword v44, v[4:5], off offset:592
	;; [unrolled: 1-line block ×4, first 2 shown]
	v_add_co_u32 v2, vcc_lo, v0, s6
	v_add_co_ci_u32_e32 v3, vcc_lo, s1, v1, vcc_lo
	global_load_dword v4, v[0:1], off
	v_add_co_u32 v0, vcc_lo, v2, s6
	v_add_co_ci_u32_e32 v1, vcc_lo, s1, v3, vcc_lo
	global_load_dword v5, v[2:3], off
	v_add_co_u32 v2, vcc_lo, v0, s6
	v_add_co_ci_u32_e32 v3, vcc_lo, s1, v1, vcc_lo
	global_load_dword v16, v[0:1], off
	v_add_co_u32 v0, vcc_lo, v2, s6
	v_add_co_ci_u32_e32 v1, vcc_lo, s1, v3, vcc_lo
	global_load_dword v20, v[2:3], off
	v_add_co_u32 v2, vcc_lo, v0, s6
	v_add_co_ci_u32_e32 v3, vcc_lo, s1, v1, vcc_lo
	global_load_dword v41, v[18:19], off offset:128
	global_load_dword v0, v[0:1], off
	global_load_dword v1, v[2:3], off
	s_clause 0x1
	global_load_dword v40, v[18:19], off offset:656
	global_load_dword v39, v[18:19], off offset:1184
	v_add_nc_u32_e32 v3, 0xc00, v38
	s_load_dwordx4 s[8:11], s[10:11], 0x0
	v_cmp_gt_u16_e32 vcc_lo, 0x58, v10
	s_waitcnt vmcnt(17)
	v_lshrrev_b32_e32 v2, 16, v6
	v_mul_f16_sdwa v21, v49, v6 dst_sel:DWORD dst_unused:UNUSED_PAD src0_sel:WORD_1 src1_sel:DWORD
	s_waitcnt vmcnt(16)
	v_lshrrev_b32_e32 v23, 16, v7
	v_mul_f16_sdwa v25, v50, v7 dst_sel:DWORD dst_unused:UNUSED_PAD src0_sel:WORD_1 src1_sel:DWORD
	v_mul_f16_sdwa v22, v49, v2 dst_sel:DWORD dst_unused:UNUSED_PAD src0_sel:WORD_1 src1_sel:DWORD
	v_fma_f16 v2, v49, v2, -v21
	v_fmac_f16_e32 v22, v49, v6
	v_mul_f16_sdwa v6, v50, v23 dst_sel:DWORD dst_unused:UNUSED_PAD src0_sel:WORD_1 src1_sel:DWORD
	v_fma_f16 v23, v50, v23, -v25
	s_waitcnt vmcnt(15)
	v_lshrrev_b32_e32 v21, 16, v8
	v_mul_f16_sdwa v25, v48, v8 dst_sel:DWORD dst_unused:UNUSED_PAD src0_sel:WORD_1 src1_sel:DWORD
	v_pack_b32_f16 v2, v22, v2
	v_fmac_f16_e32 v6, v50, v7
	v_mul_f16_sdwa v7, v48, v21 dst_sel:DWORD dst_unused:UNUSED_PAD src0_sel:WORD_1 src1_sel:DWORD
	v_fma_f16 v21, v48, v21, -v25
	s_waitcnt vmcnt(14)
	v_lshrrev_b32_e32 v22, 16, v9
	v_pack_b32_f16 v6, v6, v23
	v_fmac_f16_e32 v7, v48, v8
	s_waitcnt vmcnt(13)
	v_lshrrev_b32_e32 v23, 16, v13
	v_mul_f16_sdwa v26, v46, v9 dst_sel:DWORD dst_unused:UNUSED_PAD src0_sel:WORD_1 src1_sel:DWORD
	v_mul_f16_sdwa v8, v46, v22 dst_sel:DWORD dst_unused:UNUSED_PAD src0_sel:WORD_1 src1_sel:DWORD
	ds_write2_b32 v38, v2, v6 offset1:132
	v_pack_b32_f16 v2, v7, v21
	s_waitcnt vmcnt(12)
	v_mul_f16_sdwa v6, v45, v23 dst_sel:DWORD dst_unused:UNUSED_PAD src0_sel:WORD_1 src1_sel:DWORD
	v_fma_f16 v22, v46, v22, -v26
	v_mul_f16_sdwa v25, v45, v13 dst_sel:DWORD dst_unused:UNUSED_PAD src0_sel:WORD_1 src1_sel:DWORD
	s_waitcnt vmcnt(8)
	v_lshrrev_b32_e32 v7, 16, v4
	v_fmac_f16_e32 v8, v46, v9
	v_mul_f16_sdwa v9, v44, v4 dst_sel:DWORD dst_unused:UNUSED_PAD src0_sel:WORD_1 src1_sel:DWORD
	v_fmac_f16_e32 v6, v45, v13
	v_fma_f16 v21, v45, v23, -v25
	v_mul_f16_sdwa v13, v44, v7 dst_sel:DWORD dst_unused:UNUSED_PAD src0_sel:WORD_1 src1_sel:DWORD
	v_pack_b32_f16 v8, v8, v22
	v_fma_f16 v7, v44, v7, -v9
	s_waitcnt vmcnt(7)
	v_lshrrev_b32_e32 v9, 16, v5
	v_mul_f16_sdwa v22, v43, v5 dst_sel:DWORD dst_unused:UNUSED_PAD src0_sel:WORD_1 src1_sel:DWORD
	v_fmac_f16_e32 v13, v44, v4
	s_waitcnt vmcnt(6)
	v_lshrrev_b32_e32 v4, 16, v16
	v_pack_b32_f16 v6, v6, v21
	v_mul_f16_sdwa v21, v43, v9 dst_sel:DWORD dst_unused:UNUSED_PAD src0_sel:WORD_1 src1_sel:DWORD
	v_fma_f16 v9, v43, v9, -v22
	v_mul_f16_sdwa v22, v42, v16 dst_sel:DWORD dst_unused:UNUSED_PAD src0_sel:WORD_1 src1_sel:DWORD
	v_pack_b32_f16 v7, v13, v7
	v_mul_f16_sdwa v13, v42, v4 dst_sel:DWORD dst_unused:UNUSED_PAD src0_sel:WORD_1 src1_sel:DWORD
	v_fmac_f16_e32 v21, v43, v5
	s_waitcnt vmcnt(5)
	v_lshrrev_b32_e32 v5, 16, v20
	v_fma_f16 v4, v42, v4, -v22
	s_waitcnt vmcnt(4)
	v_mul_f16_sdwa v22, v41, v20 dst_sel:DWORD dst_unused:UNUSED_PAD src0_sel:WORD_1 src1_sel:DWORD
	v_fmac_f16_e32 v13, v42, v16
	s_waitcnt vmcnt(3)
	v_lshrrev_b32_e32 v16, 16, v0
	s_waitcnt vmcnt(2)
	v_lshrrev_b32_e32 v25, 16, v1
	v_mul_f16_sdwa v23, v41, v5 dst_sel:DWORD dst_unused:UNUSED_PAD src0_sel:WORD_1 src1_sel:DWORD
	v_fma_f16 v5, v41, v5, -v22
	s_waitcnt vmcnt(1)
	v_mul_f16_sdwa v22, v40, v0 dst_sel:DWORD dst_unused:UNUSED_PAD src0_sel:WORD_1 src1_sel:DWORD
	v_mul_f16_sdwa v26, v40, v16 dst_sel:DWORD dst_unused:UNUSED_PAD src0_sel:WORD_1 src1_sel:DWORD
	s_waitcnt vmcnt(0)
	v_mul_f16_sdwa v27, v39, v1 dst_sel:DWORD dst_unused:UNUSED_PAD src0_sel:WORD_1 src1_sel:DWORD
	v_mul_f16_sdwa v28, v39, v25 dst_sel:DWORD dst_unused:UNUSED_PAD src0_sel:WORD_1 src1_sel:DWORD
	v_fmac_f16_e32 v23, v41, v20
	v_fma_f16 v16, v40, v16, -v22
	v_fmac_f16_e32 v26, v40, v0
	v_fma_f16 v0, v39, v25, -v27
	v_fmac_f16_e32 v28, v39, v1
	v_pack_b32_f16 v1, v21, v9
	v_pack_b32_f16 v4, v13, v4
	;; [unrolled: 1-line block ×5, first 2 shown]
	ds_write2_b32 v12, v2, v8 offset0:8 offset1:140
	ds_write2_b32 v11, v6, v7 offset0:16 offset1:148
	ds_write2_b32 v3, v1, v4 offset0:24 offset1:156
	ds_write2_b32 v24, v5, v9 offset0:32 offset1:164
	ds_write_b32 v38, v0 offset:5280
	s_waitcnt lgkmcnt(0)
	s_barrier
	buffer_gl0_inv
	ds_read2_b32 v[4:5], v38 offset1:132
	ds_read_b32 v13, v38 offset:5280
	ds_read2_b32 v[8:9], v12 offset0:8 offset1:140
	ds_read2_b32 v[0:1], v24 offset0:32 offset1:164
	;; [unrolled: 1-line block ×4, first 2 shown]
	v_mov_b32_e32 v16, 0xba0c
	v_mov_b32_e32 v20, 0xbb47
	;; [unrolled: 1-line block ×7, first 2 shown]
	v_mul_lo_u16 v22, v10, 11
	s_waitcnt lgkmcnt(0)
	s_barrier
	buffer_gl0_inv
                                        ; implicit-def: $vgpr10
	v_lshlrev_b32_sdwa v53, v24, v22 dst_sel:DWORD dst_unused:UNUSED_PAD src0_sel:DWORD src1_sel:WORD_0
	v_add_nc_u32_e32 v22, 0xe00, v38
	v_pk_add_f16 v27, v4, v5
	v_pk_add_f16 v28, v13, v5
	v_pk_add_f16 v5, v5, v13 neg_lo:[0,1] neg_hi:[0,1]
	v_pk_add_f16 v30, v1, v8
	v_pk_add_f16 v31, v8, v1 neg_lo:[0,1] neg_hi:[0,1]
	v_pk_add_f16 v8, v27, v8
	v_pk_add_f16 v32, v3, v6
	v_pk_add_f16 v33, v6, v3 neg_lo:[0,1] neg_hi:[0,1]
	v_pk_add_f16 v34, v2, v7
	v_pk_add_f16 v35, v7, v2 neg_lo:[0,1] neg_hi:[0,1]
	;; [unrolled: 2-line block ×3, first 2 shown]
	v_mul_f16_sdwa v27, v5, v14 dst_sel:DWORD dst_unused:UNUSED_PAD src0_sel:WORD_1 src1_sel:DWORD
	v_pk_mul_f16 v54, 0x3abb36a6, v28
	v_lshrrev_b32_e32 v55, 16, v28
	v_mul_f16_e32 v56, 0xbb47, v5
	v_mul_f16_sdwa v57, v5, v15 dst_sel:DWORD dst_unused:UNUSED_PAD src0_sel:WORD_1 src1_sel:DWORD
	v_mul_f16_e32 v58, 0xbbeb, v5
	v_mul_f16_sdwa v59, v5, v16 dst_sel:DWORD dst_unused:UNUSED_PAD src0_sel:WORD_1 src1_sel:DWORD
	v_mul_f16_e32 v60, 0xba0c, v5
	v_pk_mul_f16 v61, 0xbbad, v28 op_sel_hi:[0,1]
	v_pk_add_f16 v8, v8, v9
	v_lshrrev_b32_e32 v62, 16, v30
	v_mul_f16_e32 v63, 0xba0c, v31
	v_mul_f16_e32 v64, 0x3482, v31
	v_mul_f16_e32 v65, 0x3beb, v31
	v_lshrrev_b32_e32 v66, 16, v36
	v_mul_f16_e32 v67, 0x3482, v37
	v_mul_f16_e32 v68, 0x3b47, v37
	v_mul_f16_e32 v69, 0xb853, v37
	;; [unrolled: 4-line block ×4, first 2 shown]
	v_mul_f16_sdwa v20, v31, v20 dst_sel:DWORD dst_unused:UNUSED_PAD src0_sel:WORD_1 src1_sel:DWORD
	v_mul_f16_sdwa v21, v31, v21 dst_sel:DWORD dst_unused:UNUSED_PAD src0_sel:WORD_1 src1_sel:DWORD
	;; [unrolled: 1-line block ×3, first 2 shown]
	v_pk_mul_f16 v78, 0x36a6b93d, v30
	v_fma_f16 v9, v28, 0x3abb, -v27
	v_fmac_f16_e32 v27, 0x3abb, v28
	v_pk_fma_f16 v90, 0xbb47b853, v5, v54 op_sel:[0,0,1] op_sel_hi:[1,1,0] neg_lo:[0,1,0] neg_hi:[0,1,0]
	v_pk_fma_f16 v54, 0xbb47b853, v5, v54 op_sel:[0,0,1] op_sel_hi:[1,1,0]
	v_pk_mul_f16 v79, 0x3abb, v30 op_sel_hi:[0,1]
	v_mul_f16_sdwa v15, v37, v15 dst_sel:DWORD dst_unused:UNUSED_PAD src0_sel:WORD_1 src1_sel:DWORD
	v_mul_f16_sdwa v80, v37, v25 dst_sel:DWORD dst_unused:UNUSED_PAD src0_sel:WORD_1 src1_sel:DWORD
	v_mul_f16_sdwa v81, v37, v14 dst_sel:DWORD dst_unused:UNUSED_PAD src0_sel:WORD_1 src1_sel:DWORD
	v_pk_mul_f16 v82, 0xb08ebbad, v36
	v_pk_mul_f16 v83, 0xb93d, v36 op_sel_hi:[0,1]
	v_mul_f16_sdwa v14, v33, v14 dst_sel:DWORD dst_unused:UNUSED_PAD src0_sel:WORD_1 src1_sel:DWORD
	v_mul_f16_sdwa v84, v33, v16 dst_sel:DWORD dst_unused:UNUSED_PAD src0_sel:WORD_1 src1_sel:DWORD
	v_mul_f16_sdwa v85, v33, v26 dst_sel:DWORD dst_unused:UNUSED_PAD src0_sel:WORD_1 src1_sel:DWORD
	v_pk_mul_f16 v86, 0xb93db08e, v32
	;; [unrolled: 5-line block ×3, first 2 shown]
	v_pk_mul_f16 v89, 0xb08e, v34 op_sel_hi:[0,1]
	v_fmamk_f16 v91, v55, 0x36a6, v56
	v_fma_f16 v56, v55, 0x36a6, -v56
	v_fma_f16 v92, v28, 0xb08e, -v57
	v_fmamk_f16 v93, v55, 0xb08e, v58
	v_fmac_f16_e32 v57, 0xb08e, v28
	v_fma_f16 v58, v55, 0xb08e, -v58
	v_fma_f16 v94, v28, 0xb93d, -v59
	v_fmac_f16_e32 v59, 0xb93d, v28
	v_fmamk_f16 v28, v55, 0xb93d, v60
	v_fma_f16 v55, v55, 0xb93d, -v60
	v_pk_fma_f16 v60, 0xb482, v5, v61 op_sel:[0,0,1] op_sel_hi:[0,1,0] neg_lo:[0,1,0] neg_hi:[0,1,0]
	v_pk_add_f16 v6, v8, v6
	v_alignbit_b32 v29, s0, v4, 16
	v_pk_fma_f16 v5, 0xb482, v5, v61 op_sel:[0,0,1] op_sel_hi:[0,1,0]
	v_fmamk_f16 v61, v62, 0xb93d, v63
	v_fma_f16 v63, v62, 0xb93d, -v63
	v_fmamk_f16 v95, v62, 0xbbad, v64
	v_fma_f16 v64, v62, 0xbbad, -v64
	;; [unrolled: 2-line block ×12, first 2 shown]
	v_fma_f16 v77, v30, 0x36a6, -v20
	v_fmac_f16_e32 v20, 0x36a6, v30
	v_fma_f16 v103, v30, 0xbbad, -v21
	v_fmac_f16_e32 v21, 0xbbad, v30
	;; [unrolled: 2-line block ×3, first 2 shown]
	v_pk_fma_f16 v30, 0xba0cbb47, v31, v78 op_sel:[0,0,1] op_sel_hi:[1,1,0] neg_lo:[0,1,0] neg_hi:[0,1,0]
	v_pk_fma_f16 v78, 0xba0cbb47, v31, v78 op_sel:[0,0,1] op_sel_hi:[1,1,0]
	v_add_f16_e32 v8, v4, v9
	v_add_f16_e32 v9, v4, v27
	v_bfi_b32 v27, 0xffff, v54, v90
	v_pk_fma_f16 v105, 0x3853, v31, v79 op_sel:[0,0,1] op_sel_hi:[0,1,0] neg_lo:[0,1,0] neg_hi:[0,1,0]
	v_pk_fma_f16 v31, 0x3853, v31, v79 op_sel:[0,0,1] op_sel_hi:[0,1,0]
	v_fma_f16 v79, v36, 0xb08e, -v15
	v_fmac_f16_e32 v15, 0xb08e, v36
	v_fma_f16 v106, v36, 0x36a6, -v80
	v_fmac_f16_e32 v80, 0x36a6, v36
	v_fma_f16 v107, v36, 0x3abb, -v81
	v_fmac_f16_e32 v81, 0x3abb, v36
	v_pk_fma_f16 v36, 0x3482bbeb, v37, v82 op_sel:[0,0,1] op_sel_hi:[1,1,0] neg_lo:[0,1,0] neg_hi:[0,1,0]
	v_pk_fma_f16 v82, 0x3482bbeb, v37, v82 op_sel:[0,0,1] op_sel_hi:[1,1,0]
	v_pk_fma_f16 v108, 0xba0c, v37, v83 op_sel:[0,0,1] op_sel_hi:[0,1,0] neg_lo:[0,1,0] neg_hi:[0,1,0]
	v_pk_fma_f16 v37, 0xba0c, v37, v83 op_sel:[0,0,1] op_sel_hi:[0,1,0]
	v_fma_f16 v83, v32, 0xb93d, -v84
	v_fmac_f16_e32 v84, 0xb93d, v32
	v_fma_f16 v109, v32, 0x3abb, -v14
	v_fmac_f16_e32 v14, 0x3abb, v32
	v_fma_f16 v110, v32, 0xbbad, -v85
	v_fmac_f16_e32 v85, 0xbbad, v32
	v_pk_fma_f16 v32, 0x3bebba0c, v33, v86 op_sel:[0,0,1] op_sel_hi:[1,1,0] neg_lo:[0,1,0] neg_hi:[0,1,0]
	v_pk_fma_f16 v86, 0x3bebba0c, v33, v86 op_sel:[0,0,1] op_sel_hi:[1,1,0]
	;; [unrolled: 10-line block ×3, first 2 shown]
	v_pk_fma_f16 v114, 0xbbeb, v35, v89 op_sel:[0,0,1] op_sel_hi:[0,1,0] neg_lo:[0,1,0] neg_hi:[0,1,0]
	v_pk_fma_f16 v35, 0xbbeb, v35, v89 op_sel:[0,0,1] op_sel_hi:[0,1,0]
	v_add_f16_sdwa v89, v4, v91 dst_sel:DWORD dst_unused:UNUSED_PAD src0_sel:WORD_1 src1_sel:DWORD
	v_add_f16_sdwa v56, v4, v56 dst_sel:DWORD dst_unused:UNUSED_PAD src0_sel:WORD_1 src1_sel:DWORD
	v_add_f16_e32 v91, v4, v92
	v_add_f16_sdwa v92, v4, v93 dst_sel:DWORD dst_unused:UNUSED_PAD src0_sel:WORD_1 src1_sel:DWORD
	v_add_f16_e32 v57, v4, v57
	;; [unrolled: 2-line block ×3, first 2 shown]
	v_add_f16_sdwa v28, v4, v28 dst_sel:DWORD dst_unused:UNUSED_PAD src0_sel:WORD_1 src1_sel:DWORD
	v_alignbit_b32 v94, s0, v60, 16
	v_add_f16_e32 v59, v4, v59
	v_add_f16_sdwa v55, v4, v55 dst_sel:DWORD dst_unused:UNUSED_PAD src0_sel:WORD_1 src1_sel:DWORD
	v_add_f16_sdwa v90, v4, v90 dst_sel:DWORD dst_unused:UNUSED_PAD src0_sel:WORD_1 src1_sel:DWORD
	v_add_f16_sdwa v54, v4, v54 dst_sel:DWORD dst_unused:UNUSED_PAD src0_sel:DWORD src1_sel:WORD_1
	v_pk_add_f16 v6, v6, v7
	v_pk_add_f16 v29, v29, v60
	v_bfi_b32 v60, 0xffff, v78, v30
	v_pk_add_f16 v7, v4, v27 op_sel:[1,0] op_sel_hi:[0,1]
	v_pk_add_f16 v5, v4, v5 op_sel:[1,0] op_sel_hi:[0,1]
	v_alignbit_b32 v116, s0, v105, 16
	v_pk_add_f16 v4, v4, v94
	v_add_f16_e32 v8, v77, v8
	v_add_f16_e32 v9, v20, v9
	;; [unrolled: 1-line block ×13, first 2 shown]
	v_add_f16_sdwa v54, v78, v54 dst_sel:DWORD dst_unused:UNUSED_PAD src0_sel:WORD_1 src1_sel:DWORD
	v_pk_add_f16 v2, v6, v2
	v_bfi_b32 v115, 0xffff, v82, v36
	v_pk_add_f16 v6, v60, v7
	v_alignbit_b32 v118, s0, v108, 16
	v_pk_add_f16 v5, v31, v5
	v_pk_add_f16 v29, v105, v29
	v_add_f16_e32 v7, v79, v8
	v_add_f16_e32 v8, v15, v9
	;; [unrolled: 1-line block ×8, first 2 shown]
	v_pk_add_f16 v4, v116, v4
	v_add_f16_e32 v21, v80, v21
	v_add_f16_e32 v31, v68, v57
	;; [unrolled: 1-line block ×5, first 2 shown]
	v_add_f16_sdwa v36, v82, v54 dst_sel:DWORD dst_unused:UNUSED_PAD src0_sel:WORD_1 src1_sel:DWORD
	v_pk_add_f16 v2, v2, v3
	v_bfi_b32 v117, 0xffff, v86, v32
	v_pk_add_f16 v3, v115, v6
	v_alignbit_b32 v120, s0, v111, 16
	v_pk_add_f16 v5, v37, v5
	v_pk_add_f16 v29, v108, v29
	v_add_f16_e32 v6, v83, v7
	v_add_f16_e32 v7, v84, v8
	;; [unrolled: 1-line block ×6, first 2 shown]
	v_pk_add_f16 v4, v118, v4
	v_add_f16_e32 v21, v14, v21
	v_add_f16_e32 v31, v72, v31
	;; [unrolled: 1-line block ×7, first 2 shown]
	v_add_f16_sdwa v30, v86, v36 dst_sel:DWORD dst_unused:UNUSED_PAD src0_sel:WORD_1 src1_sel:DWORD
	v_pk_add_f16 v0, v2, v0
	v_bfi_b32 v119, 0xffff, v88, v34
	v_pk_add_f16 v3, v117, v3
	v_alignbit_b32 v121, s0, v114, 16
	v_pk_add_f16 v5, v33, v5
	v_pk_add_f16 v29, v111, v29
	v_add_f16_e32 v14, v26, v7
	v_add_f16_e32 v2, v112, v20
	;; [unrolled: 1-line block ×5, first 2 shown]
	v_pk_add_f16 v4, v120, v4
	v_add_f16_e32 v16, v16, v21
	v_add_f16_e32 v21, v76, v31
	;; [unrolled: 1-line block ×6, first 2 shown]
	v_add_f16_sdwa v8, v88, v30 dst_sel:DWORD dst_unused:UNUSED_PAD src0_sel:WORD_1 src1_sel:DWORD
	v_add_f16_e32 v9, v75, v9
	v_pk_add_f16 v0, v0, v1
	v_add_f16_e32 v6, v87, v6
	v_pk_add_f16 v1, v119, v3
	v_pk_add_f16 v5, v35, v5
	;; [unrolled: 1-line block ×3, first 2 shown]
	v_pack_b32_f16 v3, v26, v27
	v_pack_b32_f16 v2, v2, v20
	v_pk_add_f16 v4, v121, v4
	v_pack_b32_f16 v16, v16, v21
	v_pack_b32_f16 v21, v23, v25
	;; [unrolled: 1-line block ×4, first 2 shown]
	v_pk_add_f16 v0, v0, v13
	v_alignbit_b32 v7, v7, v1, 16
	v_pack_b32_f16 v1, v6, v1
	v_alignbit_b32 v20, v28, v5, 16
	ds_write2_b32 v53, v2, v3 offset0:3 offset1:4
	v_pack_b32_f16 v2, v4, v5
	ds_write2_b32 v53, v21, v16 offset0:7 offset1:8
	ds_write2_b32 v53, v25, v23 offset0:9 offset1:10
	ds_write_b32 v53, v0
	ds_write2_b32 v53, v1, v7 offset0:1 offset1:2
	ds_write2_b32 v53, v2, v20 offset0:5 offset1:6
	s_waitcnt lgkmcnt(0)
	s_barrier
	buffer_gl0_inv
	ds_read2_b32 v[2:3], v38 offset1:132
	ds_read2_b32 v[0:1], v12 offset0:8 offset1:228
	ds_read2_b32 v[4:5], v22 offset0:72 offset1:204
	;; [unrolled: 1-line block ×3, first 2 shown]
	ds_read_b32 v11, v38 offset:4928
                                        ; implicit-def: $vgpr12
	s_and_saveexec_b32 s0, vcc_lo
	s_cbranch_execz .LBB0_3
; %bb.2:
	ds_read_b32 v8, v38 offset:1584
	ds_read_b32 v14, v38 offset:3520
	;; [unrolled: 1-line block ×3, first 2 shown]
	s_waitcnt lgkmcnt(2)
	v_lshrrev_b32_e32 v9, 16, v8
	s_waitcnt lgkmcnt(1)
	v_lshrrev_b32_e32 v15, 16, v14
	;; [unrolled: 2-line block ×3, first 2 shown]
.LBB0_3:
	s_or_b32 exec_lo, exec_lo, s0
	v_and_b32_e32 v13, 0xff, v47
	v_add_co_u32 v20, null, 0x84, v47
	v_mov_b32_e32 v21, 0xba2f
	v_add_nc_u16 v23, v47, 0x18c
	v_mul_lo_u16 v13, 0x75, v13
	v_mov_b32_e32 v56, 33
	s_waitcnt lgkmcnt(3)
	v_lshrrev_b32_e32 v35, 16, v1
	v_mul_u32_u24_sdwa v22, v20, v21 dst_sel:DWORD dst_unused:UNUSED_PAD src0_sel:WORD_0 src1_sel:DWORD
	s_waitcnt lgkmcnt(2)
	v_lshrrev_b32_e32 v36, 16, v4
	v_lshrrev_b16 v13, 8, v13
	s_waitcnt lgkmcnt(1)
	v_lshrrev_b32_e32 v59, 16, v6
	v_lshrrev_b32_e32 v60, 16, v5
	;; [unrolled: 1-line block ×4, first 2 shown]
	v_sub_nc_u16 v16, v47, v13
	v_lshrrev_b32_e32 v62, 16, v0
	v_lshrrev_b32_e32 v34, 16, v2
	v_mul_lo_u16 v26, v30, 11
	v_lshrrev_b16 v16, 1, v16
	v_sub_nc_u16 v31, v20, v26
	v_and_b32_e32 v16, 0x7f, v16
	v_mad_u16 v30, v30, 33, v31
	v_add_nc_u16 v13, v16, v13
	v_add_co_u32 v16, null, 0x108, v47
	v_lshlrev_b32_sdwa v57, v24, v30 dst_sel:DWORD dst_unused:UNUSED_PAD src0_sel:DWORD src1_sel:WORD_0
	v_lshrrev_b16 v13, 3, v13
	v_mul_u32_u24_sdwa v25, v16, v21 dst_sel:DWORD dst_unused:UNUSED_PAD src0_sel:WORD_0 src1_sel:DWORD
	v_mul_u32_u24_sdwa v21, v23, v21 dst_sel:DWORD dst_unused:UNUSED_PAD src0_sel:WORD_0 src1_sel:DWORD
	v_mul_lo_u16 v22, v13, 11
	v_lshrrev_b32_e32 v25, 19, v25
	v_lshrrev_b32_e32 v54, 19, v21
	v_mul_u32_u24_sdwa v13, v13, v56 dst_sel:DWORD dst_unused:UNUSED_PAD src0_sel:WORD_0 src1_sel:DWORD
	v_sub_nc_u16 v22, v47, v22
	v_mul_lo_u16 v21, v25, 11
	v_mul_lo_u16 v20, v54, 11
	v_and_b32_e32 v32, 0xff, v22
	v_sub_nc_u16 v33, v16, v21
	v_lshlrev_b16 v21, 1, v31
	v_sub_nc_u16 v55, v23, v20
	v_lshrrev_b32_e32 v31, 16, v7
	v_lshlrev_b32_e32 v22, 3, v32
	v_lshlrev_b16 v20, 1, v33
	v_lshlrev_b32_sdwa v21, v24, v21 dst_sel:DWORD dst_unused:UNUSED_PAD src0_sel:DWORD src1_sel:WORD_0
	v_mad_u16 v25, v25, 33, v33
	s_waitcnt lgkmcnt(0)
	v_lshrrev_b32_e32 v33, 16, v11
	global_load_dwordx2 v[28:29], v22, s[2:3]
	v_lshlrev_b32_sdwa v20, v24, v20 dst_sel:DWORD dst_unused:UNUSED_PAD src0_sel:DWORD src1_sel:WORD_0
	global_load_dwordx2 v[26:27], v21, s[2:3]
	v_lshlrev_b16 v22, 1, v55
	v_lshlrev_b32_sdwa v56, v24, v25 dst_sel:DWORD dst_unused:UNUSED_PAD src0_sel:DWORD src1_sel:WORD_0
	v_add_lshl_u32 v58, v13, v32, 2
	v_lshlrev_b32_sdwa v21, v24, v22 dst_sel:DWORD dst_unused:UNUSED_PAD src0_sel:DWORD src1_sel:WORD_0
	s_clause 0x1
	global_load_dwordx2 v[22:23], v20, s[2:3]
	global_load_dwordx2 v[20:21], v21, s[2:3]
	s_waitcnt vmcnt(0)
	s_barrier
	buffer_gl0_inv
	v_mul_f16_sdwa v25, v35, v28 dst_sel:DWORD dst_unused:UNUSED_PAD src0_sel:DWORD src1_sel:WORD_1
	v_mul_f16_sdwa v30, v1, v28 dst_sel:DWORD dst_unused:UNUSED_PAD src0_sel:DWORD src1_sel:WORD_1
	;; [unrolled: 1-line block ×8, first 2 shown]
	v_fma_f16 v25, v1, v28, -v25
	v_fmac_f16_e32 v30, v35, v28
	v_fma_f16 v32, v4, v29, -v32
	v_mul_f16_sdwa v67, v31, v22 dst_sel:DWORD dst_unused:UNUSED_PAD src0_sel:DWORD src1_sel:WORD_1
	v_mul_f16_sdwa v68, v7, v22 dst_sel:DWORD dst_unused:UNUSED_PAD src0_sel:DWORD src1_sel:WORD_1
	;; [unrolled: 1-line block ×8, first 2 shown]
	v_fmac_f16_e32 v61, v36, v29
	v_fma_f16 v6, v6, v26, -v63
	v_fmac_f16_e32 v64, v59, v26
	v_fma_f16 v35, v5, v27, -v65
	;; [unrolled: 2-line block ×6, first 2 shown]
	v_fmac_f16_e32 v13, v12, v21
	v_add_f16_e32 v11, v25, v32
	v_add_f16_e32 v15, v30, v61
	;; [unrolled: 1-line block ×4, first 2 shown]
	v_sub_f16_e32 v33, v64, v66
	v_add_f16_e32 v36, v37, v64
	v_add_f16_e32 v64, v5, v7
	v_sub_f16_e32 v65, v68, v70
	v_add_f16_e32 v67, v62, v68
	v_add_f16_e32 v68, v68, v70
	;; [unrolled: 1-line block ×3, first 2 shown]
	v_sub_f16_e32 v12, v30, v61
	v_add_f16_e32 v14, v34, v30
	v_sub_f16_e32 v25, v25, v32
	v_add_f16_e32 v30, v3, v6
	v_add_f16_e32 v63, v0, v5
	v_add_f16_e32 v71, v4, v1
	v_add_f16_e32 v72, v24, v13
	v_fma_f16 v11, -0.5, v11, v2
	v_fmac_f16_e32 v34, -0.5, v15
	v_sub_f16_e32 v60, v6, v35
	v_fmac_f16_e32 v3, -0.5, v31
	v_fmac_f16_e32 v37, -0.5, v59
	v_sub_f16_e32 v69, v5, v7
	v_fmac_f16_e32 v0, -0.5, v64
	v_fmac_f16_e32 v62, -0.5, v68
	v_sub_f16_e32 v5, v24, v13
	v_sub_f16_e32 v6, v4, v1
	v_add_f16_e32 v10, v10, v32
	v_add_f16_e32 v14, v14, v61
	;; [unrolled: 1-line block ×4, first 2 shown]
	v_fma_f16 v2, -0.5, v71, v8
	v_fma_f16 v7, -0.5, v72, v9
	v_fmamk_f16 v35, v12, 0x3aee, v11
	v_fmac_f16_e32 v11, 0xbaee, v12
	v_fmamk_f16 v12, v25, 0xbaee, v34
	v_fmac_f16_e32 v34, 0x3aee, v25
	v_add_f16_e32 v30, v36, v66
	v_fmamk_f16 v25, v33, 0x3aee, v3
	v_fmac_f16_e32 v3, 0xbaee, v33
	v_fmamk_f16 v33, v60, 0xbaee, v37
	v_fmac_f16_e32 v37, 0x3aee, v60
	v_add_f16_e32 v32, v67, v70
	v_fmamk_f16 v36, v65, 0x3aee, v0
	v_fmamk_f16 v59, v69, 0xbaee, v62
	v_fmac_f16_e32 v0, 0xbaee, v65
	v_fmac_f16_e32 v62, 0x3aee, v69
	v_fmamk_f16 v60, v5, 0xbaee, v2
	v_fmamk_f16 v61, v6, 0x3aee, v7
	v_pack_b32_f16 v10, v10, v14
	v_pack_b32_f16 v12, v35, v12
	;; [unrolled: 1-line block ×9, first 2 shown]
	ds_write2_b32 v58, v10, v12 offset1:11
	ds_write_b32 v58, v11 offset:88
	ds_write2_b32 v57, v14, v25 offset1:11
	ds_write_b32 v57, v3 offset:88
	;; [unrolled: 2-line block ×3, first 2 shown]
	s_and_saveexec_b32 s0, vcc_lo
	s_cbranch_execz .LBB0_5
; %bb.4:
	v_mul_f16_e32 v0, 0x3aee, v6
	v_add_f16_e32 v3, v9, v24
	v_mul_f16_e32 v5, 0x3aee, v5
	v_add_f16_e32 v4, v8, v4
	v_mad_u16 v6, v54, 33, v55
	v_sub_f16_e32 v0, v7, v0
	v_add_f16_e32 v3, v3, v13
	v_mov_b32_e32 v7, 2
	v_add_f16_e32 v1, v4, v1
	v_add_f16_e32 v2, v5, v2
	v_lshlrev_b32_sdwa v4, v7, v6 dst_sel:DWORD dst_unused:UNUSED_PAD src0_sel:DWORD src1_sel:WORD_0
	v_pack_b32_f16 v1, v1, v3
	v_pack_b32_f16 v0, v2, v0
	v_perm_b32 v2, v61, v60, 0x5040100
	ds_write2_b32 v4, v1, v0 offset1:11
	ds_write_b32 v4, v2 offset:88
.LBB0_5:
	s_or_b32 exec_lo, exec_lo, s0
	v_and_b32_e32 v0, 0xff, v47
	s_waitcnt lgkmcnt(0)
	s_barrier
	buffer_gl0_inv
	v_add_nc_u32_e32 v10, 0x800, v38
	v_mul_lo_u16 v0, 0xf9, v0
	v_add_nc_u32_e32 v32, 0x400, v38
	v_add_nc_u32_e32 v11, 0xc00, v38
	v_add_nc_u32_e32 v36, 0x1000, v38
	v_mov_b32_e32 v37, 0x16b
	v_lshrrev_b16 v34, 13, v0
	v_add_nc_u32_e32 v68, 0xa00, v38
	v_cmp_gt_u16_e64 s0, 0x63, v47
	v_mul_lo_u16 v0, v34, 33
	v_mul_u32_u24_sdwa v34, v34, v37 dst_sel:DWORD dst_unused:UNUSED_PAD src0_sel:WORD_0 src1_sel:DWORD
	v_sub_nc_u16 v0, v47, v0
	v_and_b32_e32 v33, 0xff, v0
	v_mad_u64_u32 v[8:9], null, v33, 40, s[2:3]
	v_add_lshl_u32 v59, v34, v33, 2
	s_clause 0x2
	global_load_dwordx4 v[4:7], v[8:9], off offset:88
	global_load_dwordx4 v[0:3], v[8:9], off offset:104
	global_load_dwordx2 v[24:25], v[8:9], off offset:120
	ds_read2_b32 v[8:9], v38 offset1:132
	ds_read_b32 v35, v38 offset:5280
	ds_read2_b32 v[30:31], v32 offset0:8 offset1:140
	ds_read2_b32 v[14:15], v10 offset0:16 offset1:148
	;; [unrolled: 1-line block ×4, first 2 shown]
	v_add_nc_u32_e32 v70, 0x400, v59
	s_waitcnt vmcnt(0) lgkmcnt(0)
	s_barrier
	buffer_gl0_inv
	v_lshrrev_b32_e32 v65, 16, v14
	v_lshrrev_b32_e32 v37, 16, v9
	;; [unrolled: 1-line block ×10, first 2 shown]
	v_mul_f16_sdwa v71, v37, v4 dst_sel:DWORD dst_unused:UNUSED_PAD src0_sel:DWORD src1_sel:WORD_1
	v_mul_f16_sdwa v72, v9, v4 dst_sel:DWORD dst_unused:UNUSED_PAD src0_sel:DWORD src1_sel:WORD_1
	;; [unrolled: 1-line block ×9, first 2 shown]
	v_fma_f16 v9, v9, v4, -v71
	v_fmac_f16_e32 v72, v37, v4
	v_mul_f16_sdwa v75, v64, v6 dst_sel:DWORD dst_unused:UNUSED_PAD src0_sel:DWORD src1_sel:WORD_1
	v_mul_f16_sdwa v76, v31, v6 dst_sel:DWORD dst_unused:UNUSED_PAD src0_sel:DWORD src1_sel:WORD_1
	;; [unrolled: 1-line block ×11, first 2 shown]
	v_fma_f16 v30, v30, v5, -v73
	v_fmac_f16_e32 v74, v63, v5
	v_fmac_f16_e32 v82, v33, v1
	;; [unrolled: 1-line block ×3, first 2 shown]
	v_fma_f16 v11, v11, v24, -v87
	v_fma_f16 v33, v35, v25, -v89
	v_fmac_f16_e32 v90, v62, v25
	v_add_f16_e32 v34, v8, v9
	v_add_f16_sdwa v35, v8, v72 dst_sel:DWORD dst_unused:UNUSED_PAD src0_sel:WORD_1 src1_sel:DWORD
	v_fma_f16 v31, v31, v6, -v75
	v_fmac_f16_e32 v76, v64, v6
	v_fma_f16 v14, v14, v7, -v77
	v_fmac_f16_e32 v78, v65, v7
	;; [unrolled: 2-line block ×3, first 2 shown]
	v_fma_f16 v12, v12, v1, -v81
	v_fma_f16 v13, v13, v2, -v83
	;; [unrolled: 1-line block ×3, first 2 shown]
	v_fmac_f16_e32 v86, v67, v3
	v_fmac_f16_e32 v88, v69, v24
	v_add_f16_e32 v37, v9, v33
	v_sub_f16_e32 v9, v9, v33
	v_sub_f16_e32 v63, v72, v90
	v_add_f16_e32 v64, v30, v11
	v_sub_f16_e32 v66, v30, v11
	v_add_f16_e32 v30, v34, v30
	v_add_f16_e32 v34, v35, v74
	;; [unrolled: 1-line block ×4, first 2 shown]
	v_sub_f16_e32 v67, v74, v88
	v_add_f16_e32 v69, v31, v10
	v_sub_f16_e32 v72, v31, v10
	v_sub_f16_e32 v73, v76, v86
	;; [unrolled: 1-line block ×6, first 2 shown]
	v_mul_f16_e32 v35, 0xb853, v63
	v_mul_f16_e32 v74, 0xb853, v9
	;; [unrolled: 1-line block ×10, first 2 shown]
	v_add_f16_e32 v30, v30, v31
	v_add_f16_e32 v31, v34, v76
	;; [unrolled: 1-line block ×7, first 2 shown]
	v_mul_f16_e32 v97, 0xbb47, v67
	v_mul_f16_e32 v98, 0xbb47, v66
	v_mul_f16_e32 v99, 0xba0c, v67
	v_mul_f16_e32 v100, 0xba0c, v66
	v_mul_f16_e32 v101, 0x3482, v67
	v_mul_f16_e32 v102, 0x3482, v66
	v_mul_f16_e32 v103, 0x3beb, v67
	v_mul_f16_e32 v104, 0x3beb, v66
	v_mul_f16_e32 v67, 0x3853, v67
	v_mul_f16_e32 v66, 0x3853, v66
	v_mul_f16_e32 v105, 0xbbeb, v73
	v_mul_f16_e32 v106, 0xbbeb, v72
	v_mul_f16_e32 v107, 0x3482, v73
	v_mul_f16_e32 v108, 0x3482, v72
	v_mul_f16_e32 v109, 0x3b47, v73
	v_mul_f16_e32 v110, 0x3b47, v72
	v_mul_f16_e32 v111, 0xb853, v73
	v_mul_f16_e32 v112, 0xb853, v72
	v_mul_f16_e32 v73, 0xba0c, v73
	v_mul_f16_e32 v72, 0xba0c, v72
	v_mul_f16_e32 v113, 0xba0c, v81
	v_mul_f16_e32 v114, 0xba0c, v79
	v_mul_f16_e32 v115, 0x3beb, v81
	v_mul_f16_e32 v116, 0x3beb, v79
	v_mul_f16_e32 v117, 0xb853, v81
	v_mul_f16_e32 v118, 0xb853, v79
	v_mul_f16_e32 v119, 0xb482, v81
	v_mul_f16_e32 v120, 0xb482, v79
	v_mul_f16_e32 v81, 0x3b47, v81
	v_mul_f16_e32 v79, 0x3b47, v79
	v_mul_f16_e32 v121, 0xb482, v83
	v_mul_f16_e32 v122, 0x3853, v83
	v_mul_f16_e32 v123, 0xba0c, v83
	v_mul_f16_e32 v124, 0x3b47, v83
	v_mul_f16_e32 v83, 0xbbeb, v83
	v_mul_f16_e32 v125, 0xb482, v87
	v_mul_f16_e32 v126, 0x3853, v87
	v_mul_f16_e32 v127, 0xba0c, v87
	v_mul_f16_e32 v128, 0x3b47, v87
	v_mul_f16_e32 v87, 0xbbeb, v87
	v_fma_f16 v34, v37, 0x3abb, -v35
	v_fmamk_f16 v76, v62, 0x3abb, v74
	v_fmac_f16_e32 v35, 0x3abb, v37
	v_fma_f16 v74, v62, 0x3abb, -v74
	v_fma_f16 v129, v37, 0x36a6, -v91
	v_fmamk_f16 v130, v62, 0x36a6, v92
	v_fmac_f16_e32 v91, 0x36a6, v37
	v_fma_f16 v92, v62, 0x36a6, -v92
	;; [unrolled: 4-line block ×5, first 2 shown]
	v_add_f16_e32 v14, v30, v14
	v_add_f16_e32 v30, v31, v78
	v_fma_f16 v37, v64, 0x36a6, -v97
	v_fmamk_f16 v62, v65, 0x36a6, v98
	v_fmac_f16_e32 v97, 0x36a6, v64
	v_fma_f16 v98, v65, 0x36a6, -v98
	v_fma_f16 v137, v64, 0xb93d, -v99
	v_fmamk_f16 v138, v65, 0xb93d, v100
	v_fmac_f16_e32 v99, 0xb93d, v64
	v_fma_f16 v100, v65, 0xb93d, -v100
	;; [unrolled: 4-line block ×10, first 2 shown]
	v_fma_f16 v71, v75, 0xb93d, -v113
	v_fmac_f16_e32 v113, 0xb93d, v75
	v_fma_f16 v72, v75, 0xb08e, -v115
	v_fmac_f16_e32 v115, 0xb08e, v75
	;; [unrolled: 2-line block ×5, first 2 shown]
	v_fmamk_f16 v75, v77, 0xb93d, v114
	v_fma_f16 v114, v77, 0xb93d, -v114
	v_fmamk_f16 v156, v77, 0xb08e, v116
	v_fma_f16 v116, v77, 0xb08e, -v116
	;; [unrolled: 2-line block ×5, first 2 shown]
	v_fma_f16 v79, v85, 0xbbad, -v121
	v_fmac_f16_e32 v121, 0xbbad, v85
	v_fma_f16 v160, v85, 0x3abb, -v122
	v_fmac_f16_e32 v122, 0x3abb, v85
	;; [unrolled: 2-line block ×5, first 2 shown]
	v_fmamk_f16 v85, v89, 0xbbad, v125
	v_fma_f16 v125, v89, 0xbbad, -v125
	v_fmamk_f16 v164, v89, 0x3abb, v126
	v_fma_f16 v126, v89, 0x3abb, -v126
	;; [unrolled: 2-line block ×5, first 2 shown]
	v_add_f16_e32 v34, v8, v34
	v_add_f16_sdwa v76, v8, v76 dst_sel:DWORD dst_unused:UNUSED_PAD src0_sel:WORD_1 src1_sel:DWORD
	v_add_f16_e32 v35, v8, v35
	v_add_f16_sdwa v74, v8, v74 dst_sel:DWORD dst_unused:UNUSED_PAD src0_sel:WORD_1 src1_sel:DWORD
	;; [unrolled: 2-line block ×10, first 2 shown]
	v_add_f16_e32 v9, v14, v15
	v_add_f16_e32 v14, v30, v80
	;; [unrolled: 1-line block ×92, first 2 shown]
	v_pack_b32_f16 v11, v12, v13
	v_pack_b32_f16 v12, v14, v15
	;; [unrolled: 1-line block ×11, first 2 shown]
	ds_write2_b32 v59, v12, v13 offset0:66 offset1:99
	ds_write2_b32 v59, v14, v15 offset0:132 offset1:165
	;; [unrolled: 1-line block ×4, first 2 shown]
	ds_write_b32 v59, v34 offset:1320
	ds_write2_b32 v59, v9, v11 offset1:33
	s_waitcnt lgkmcnt(0)
	s_barrier
	buffer_gl0_inv
	ds_read2_b32 v[30:31], v38 offset1:132
	ds_read2_b32 v[34:35], v32 offset0:107 offset1:239
	ds_read2_b32 v[32:33], v68 offset0:86 offset1:218
	;; [unrolled: 1-line block ×3, first 2 shown]
	s_and_saveexec_b32 s1, s0
	s_cbranch_execz .LBB0_7
; %bb.6:
	ds_read_b32 v62, v38 offset:1056
	ds_read_b32 v65, v38 offset:2508
	;; [unrolled: 1-line block ×4, first 2 shown]
	s_waitcnt lgkmcnt(3)
	v_lshrrev_b32_e32 v63, 16, v62
	s_waitcnt lgkmcnt(2)
	v_lshrrev_b32_e32 v67, 16, v65
	;; [unrolled: 2-line block ×4, first 2 shown]
.LBB0_7:
	s_or_b32 exec_lo, exec_lo, s1
	v_mad_u64_u32 v[8:9], null, v47, 12, s[2:3]
	v_add_nc_u32_e32 v10, 0xffffff9d, v47
	s_waitcnt lgkmcnt(2)
	v_lshrrev_b32_e32 v69, 16, v34
	s_waitcnt lgkmcnt(1)
	v_lshrrev_b32_e32 v70, 16, v32
	;; [unrolled: 2-line block ×3, first 2 shown]
	v_lshrrev_b32_e32 v73, 16, v35
	v_cndmask_b32_e64 v10, v10, v16, s0
	global_load_dwordx3 v[11:13], v[8:9], off offset:1408
	v_add_co_u32 v8, s1, 0x800, v8
	v_add_co_ci_u32_e64 v9, s1, 0, v9, s1
	v_lshrrev_b32_e32 v74, 16, v33
	v_lshrrev_b32_e32 v75, 16, v37
	v_lshrrev_b32_e32 v68, 16, v30
	global_load_dwordx3 v[14:16], v[8:9], off offset:944
	v_mul_i32_i24_e32 v8, 12, v10
	v_mul_hi_i32_i24_e32 v9, 12, v10
	v_lshrrev_b32_e32 v72, 16, v31
	v_add_co_u32 v8, s1, s2, v8
	v_add_co_ci_u32_e64 v9, s1, s3, v9, s1
	global_load_dwordx3 v[8:10], v[8:9], off offset:1408
	s_waitcnt vmcnt(2)
	v_mul_f16_sdwa v76, v69, v11 dst_sel:DWORD dst_unused:UNUSED_PAD src0_sel:DWORD src1_sel:WORD_1
	v_mul_f16_sdwa v77, v34, v11 dst_sel:DWORD dst_unused:UNUSED_PAD src0_sel:DWORD src1_sel:WORD_1
	;; [unrolled: 1-line block ×6, first 2 shown]
	v_fma_f16 v34, v34, v11, -v76
	v_fmac_f16_e32 v77, v69, v11
	v_fma_f16 v32, v32, v12, -v78
	v_fmac_f16_e32 v79, v70, v12
	;; [unrolled: 2-line block ×3, first 2 shown]
	s_waitcnt vmcnt(1)
	v_mul_f16_sdwa v69, v73, v14 dst_sel:DWORD dst_unused:UNUSED_PAD src0_sel:DWORD src1_sel:WORD_1
	v_mul_f16_sdwa v70, v35, v14 dst_sel:DWORD dst_unused:UNUSED_PAD src0_sel:DWORD src1_sel:WORD_1
	;; [unrolled: 1-line block ×6, first 2 shown]
	v_fma_f16 v35, v35, v14, -v69
	v_fmac_f16_e32 v70, v73, v14
	v_fma_f16 v33, v33, v15, -v71
	v_fmac_f16_e32 v76, v74, v15
	;; [unrolled: 2-line block ×3, first 2 shown]
	v_sub_f16_e32 v69, v30, v32
	v_sub_f16_e32 v71, v68, v79
	;; [unrolled: 1-line block ×4, first 2 shown]
	s_waitcnt vmcnt(0)
	v_mul_f16_sdwa v74, v67, v8 dst_sel:DWORD dst_unused:UNUSED_PAD src0_sel:DWORD src1_sel:WORD_1
	v_mul_f16_sdwa v32, v65, v8 dst_sel:DWORD dst_unused:UNUSED_PAD src0_sel:DWORD src1_sel:WORD_1
	;; [unrolled: 1-line block ×4, first 2 shown]
	v_fma_f16 v68, v68, 2.0, -v71
	v_fma_f16 v34, v34, 2.0, -v36
	;; [unrolled: 1-line block ×3, first 2 shown]
	v_sub_f16_e32 v73, v69, v73
	v_add_f16_e32 v36, v71, v36
	v_sub_f16_e32 v83, v31, v33
	v_sub_f16_e32 v76, v72, v76
	v_sub_f16_e32 v33, v35, v37
	v_sub_f16_e32 v37, v70, v80
	v_mul_f16_sdwa v79, v61, v10 dst_sel:DWORD dst_unused:UNUSED_PAD src0_sel:DWORD src1_sel:WORD_1
	v_mul_f16_sdwa v81, v60, v10 dst_sel:DWORD dst_unused:UNUSED_PAD src0_sel:DWORD src1_sel:WORD_1
	v_fma_f16 v82, v30, 2.0, -v69
	v_fma_f16 v30, v65, v8, -v74
	v_fmac_f16_e32 v32, v67, v8
	v_fma_f16 v64, v64, v9, -v75
	v_fmac_f16_e32 v78, v66, v9
	v_sub_f16_e32 v65, v68, v77
	v_fma_f16 v66, v69, 2.0, -v73
	v_fma_f16 v67, v71, 2.0, -v36
	;; [unrolled: 1-line block ×6, first 2 shown]
	v_fma_f16 v60, v60, v10, -v79
	v_fmac_f16_e32 v81, v61, v10
	v_sub_f16_e32 v61, v82, v34
	v_sub_f16_e32 v31, v62, v64
	v_fma_f16 v64, v68, 2.0, -v65
	v_sub_f16_e32 v68, v69, v72
	v_sub_f16_e32 v70, v71, v70
	;; [unrolled: 1-line block ×3, first 2 shown]
	v_add_f16_e32 v74, v76, v33
	v_pack_b32_f16 v36, v73, v36
	v_sub_f16_e32 v33, v63, v78
	v_sub_f16_e32 v35, v30, v60
	;; [unrolled: 1-line block ×3, first 2 shown]
	v_fma_f16 v60, v82, 2.0, -v61
	v_pack_b32_f16 v66, v66, v67
	v_pack_b32_f16 v61, v61, v65
	v_fma_f16 v65, v69, 2.0, -v68
	v_fma_f16 v67, v71, 2.0, -v70
	;; [unrolled: 1-line block ×4, first 2 shown]
	ds_write_b32 v38, v36 offset:4356
	v_pack_b32_f16 v69, v37, v74
	v_sub_f16_e32 v36, v31, v34
	v_add_f16_e32 v37, v33, v35
	v_pack_b32_f16 v60, v60, v64
	v_pack_b32_f16 v64, v65, v67
	;; [unrolled: 1-line block ×4, first 2 shown]
	ds_write_b32 v38, v66 offset:1452
	ds_write_b32 v38, v61 offset:2904
	ds_write2_b32 v38, v60, v64 offset1:132
	ds_write_b32 v38, v65 offset:1980
	ds_write_b32 v38, v67 offset:3432
	;; [unrolled: 1-line block ×3, first 2 shown]
	s_and_saveexec_b32 s1, s0
	s_cbranch_execz .LBB0_9
; %bb.8:
	v_fma_f16 v60, v62, 2.0, -v31
	v_fma_f16 v30, v30, 2.0, -v35
	;; [unrolled: 1-line block ×6, first 2 shown]
	v_sub_f16_e32 v30, v60, v30
	v_sub_f16_e32 v32, v35, v32
	v_pack_b32_f16 v31, v31, v33
	v_fma_f16 v34, v60, 2.0, -v30
	v_perm_b32 v33, v37, v36, 0x5040100
	v_fma_f16 v35, v35, 2.0, -v32
	v_pack_b32_f16 v30, v30, v32
	v_pack_b32_f16 v32, v34, v35
	ds_write_b32 v38, v31 offset:2508
	ds_write_b32 v38, v30 offset:3960
	;; [unrolled: 1-line block ×4, first 2 shown]
.LBB0_9:
	s_or_b32 exec_lo, exec_lo, s1
	v_add_co_u32 v30, s1, 0x16b0, v51
	v_add_co_ci_u32_e64 v31, s1, 0, v52, s1
	s_waitcnt lgkmcnt(0)
	s_barrier
	buffer_gl0_inv
	s_clause 0x1
	global_load_dword v34, v[18:19], off offset:1712
	global_load_dword v35, v[30:31], off offset:528
	v_add_co_u32 v18, s1, 0x1800, v51
	v_add_co_ci_u32_e64 v19, s1, 0, v52, s1
	v_add_co_u32 v32, s1, 0x2000, v51
	v_add_co_ci_u32_e64 v33, s1, 0, v52, s1
	s_clause 0x4
	global_load_dword v62, v[30:31], off offset:1056
	global_load_dword v63, v[30:31], off offset:1584
	;; [unrolled: 1-line block ×5, first 2 shown]
	v_add_co_u32 v18, s1, 0x2800, v51
	v_add_co_ci_u32_e64 v19, s1, 0, v52, s1
	s_clause 0x3
	global_load_dword v67, v[32:33], off offset:1312
	global_load_dword v68, v[32:33], off offset:1840
	;; [unrolled: 1-line block ×4, first 2 shown]
	ds_read2_b32 v[18:19], v38 offset1:132
	v_add_nc_u32_e32 v71, 0x1000, v38
	v_mov_b32_e32 v72, 0xbb47
	v_mov_b32_e32 v73, 0x36a6
	;; [unrolled: 1-line block ×4, first 2 shown]
	s_waitcnt lgkmcnt(0)
	v_lshrrev_b32_e32 v30, 16, v18
	v_lshrrev_b32_e32 v31, 16, v19
	s_waitcnt vmcnt(10)
	v_mul_f16_sdwa v32, v30, v34 dst_sel:DWORD dst_unused:UNUSED_PAD src0_sel:DWORD src1_sel:WORD_1
	v_mul_f16_sdwa v33, v18, v34 dst_sel:DWORD dst_unused:UNUSED_PAD src0_sel:DWORD src1_sel:WORD_1
	s_waitcnt vmcnt(9)
	v_mul_f16_sdwa v51, v31, v35 dst_sel:DWORD dst_unused:UNUSED_PAD src0_sel:DWORD src1_sel:WORD_1
	v_mul_f16_sdwa v52, v19, v35 dst_sel:DWORD dst_unused:UNUSED_PAD src0_sel:DWORD src1_sel:WORD_1
	v_fma_f16 v18, v18, v34, -v32
	v_fmac_f16_e32 v33, v30, v34
	v_fma_f16 v19, v19, v35, -v51
	v_fmac_f16_e32 v52, v31, v35
	v_add_nc_u32_e32 v32, 0x800, v38
	v_add_nc_u32_e32 v35, 0xc00, v38
	v_pack_b32_f16 v30, v18, v33
	v_add_nc_u32_e32 v18, 0x400, v38
	v_pack_b32_f16 v19, v19, v52
	ds_write2_b32 v38, v30, v19 offset1:132
	ds_read2_b32 v[30:31], v18 offset0:8 offset1:140
	ds_read2_b32 v[33:34], v32 offset0:16 offset1:148
	ds_read2_b32 v[51:52], v35 offset0:24 offset1:156
	ds_read2_b32 v[60:61], v71 offset0:32 offset1:164
	ds_read_b32 v19, v38 offset:5280
	s_waitcnt lgkmcnt(4)
	v_lshrrev_b32_e32 v76, 16, v30
	s_waitcnt vmcnt(8)
	v_mul_f16_sdwa v77, v30, v62 dst_sel:DWORD dst_unused:UNUSED_PAD src0_sel:DWORD src1_sel:WORD_1
	v_lshrrev_b32_e32 v78, 16, v31
	s_waitcnt vmcnt(7)
	v_mul_f16_sdwa v79, v31, v63 dst_sel:DWORD dst_unused:UNUSED_PAD src0_sel:DWORD src1_sel:WORD_1
	s_waitcnt lgkmcnt(3)
	v_lshrrev_b32_e32 v80, 16, v33
	s_waitcnt vmcnt(6)
	v_mul_f16_sdwa v81, v33, v64 dst_sel:DWORD dst_unused:UNUSED_PAD src0_sel:DWORD src1_sel:WORD_1
	v_lshrrev_b32_e32 v82, 16, v34
	s_waitcnt vmcnt(5)
	v_mul_f16_sdwa v83, v34, v65 dst_sel:DWORD dst_unused:UNUSED_PAD src0_sel:DWORD src1_sel:WORD_1
	;; [unrolled: 7-line block ×4, first 2 shown]
	s_waitcnt lgkmcnt(0)
	v_lshrrev_b32_e32 v92, 16, v19
	v_mul_f16_sdwa v94, v76, v62 dst_sel:DWORD dst_unused:UNUSED_PAD src0_sel:DWORD src1_sel:WORD_1
	v_fmac_f16_e32 v77, v76, v62
	v_mul_f16_sdwa v76, v78, v63 dst_sel:DWORD dst_unused:UNUSED_PAD src0_sel:DWORD src1_sel:WORD_1
	v_fmac_f16_e32 v79, v78, v63
	;; [unrolled: 2-line block ×7, first 2 shown]
	v_mul_f16_sdwa v88, v90, v69 dst_sel:DWORD dst_unused:UNUSED_PAD src0_sel:DWORD src1_sel:WORD_1
	s_waitcnt vmcnt(0)
	v_mul_f16_sdwa v93, v19, v70 dst_sel:DWORD dst_unused:UNUSED_PAD src0_sel:DWORD src1_sel:WORD_1
	v_fmac_f16_e32 v91, v90, v69
	v_mul_f16_sdwa v90, v92, v70 dst_sel:DWORD dst_unused:UNUSED_PAD src0_sel:DWORD src1_sel:WORD_1
	v_fma_f16 v30, v30, v62, -v94
	v_fma_f16 v31, v31, v63, -v76
	;; [unrolled: 1-line block ×8, first 2 shown]
	v_fmac_f16_e32 v93, v92, v70
	v_fma_f16 v19, v19, v70, -v90
	v_pack_b32_f16 v30, v30, v77
	v_pack_b32_f16 v31, v31, v79
	;; [unrolled: 1-line block ×9, first 2 shown]
	ds_write2_b32 v18, v30, v31 offset0:8 offset1:140
	ds_write2_b32 v32, v33, v34 offset0:16 offset1:148
	;; [unrolled: 1-line block ×4, first 2 shown]
	ds_write_b32 v38, v19 offset:5280
	s_waitcnt lgkmcnt(0)
	s_barrier
	buffer_gl0_inv
	ds_read2_b32 v[30:31], v38 offset1:132
	ds_read_b32 v19, v38 offset:5280
	ds_read2_b32 v[33:34], v18 offset0:8 offset1:140
	ds_read2_b32 v[60:61], v71 offset0:32 offset1:164
	;; [unrolled: 1-line block ×4, first 2 shown]
	v_mov_b32_e32 v64, 0xba0c
	v_mov_b32_e32 v65, 0xb93d
	;; [unrolled: 1-line block ×10, first 2 shown]
	v_add_nc_u32_e32 v77, 0xe00, v38
	s_waitcnt lgkmcnt(0)
	s_barrier
	buffer_gl0_inv
	v_pk_add_f16 v78, v30, v31
	v_pk_add_f16 v79, v19, v31
	v_pk_add_f16 v31, v31, v19 neg_lo:[0,1] neg_hi:[0,1]
	v_pk_add_f16 v81, v33, v61 neg_lo:[0,1] neg_hi:[0,1]
	;; [unrolled: 1-line block ×5, first 2 shown]
	v_pk_add_f16 v80, v61, v33
	v_pk_add_f16 v33, v78, v33
	;; [unrolled: 1-line block ×5, first 2 shown]
	v_pk_mul_f16 v78, 0xb853, v31 op_sel_hi:[0,1]
	v_mul_f16_sdwa v72, v31, v72 dst_sel:DWORD dst_unused:UNUSED_PAD src0_sel:WORD_1 src1_sel:DWORD
	v_mul_f16_sdwa v89, v79, v73 dst_sel:DWORD dst_unused:UNUSED_PAD src0_sel:WORD_1 src1_sel:DWORD
	v_mul_f16_sdwa v74, v31, v74 dst_sel:DWORD dst_unused:UNUSED_PAD src0_sel:WORD_1 src1_sel:DWORD
	v_mul_f16_sdwa v90, v79, v75 dst_sel:DWORD dst_unused:UNUSED_PAD src0_sel:WORD_1 src1_sel:DWORD
	v_mul_f16_sdwa v91, v31, v64 dst_sel:DWORD dst_unused:UNUSED_PAD src0_sel:WORD_1 src1_sel:DWORD
	v_mul_f16_sdwa v92, v79, v65 dst_sel:DWORD dst_unused:UNUSED_PAD src0_sel:WORD_1 src1_sel:DWORD
	v_pk_mul_f16 v93, 0xbb47, v81 op_sel_hi:[0,1]
	v_mul_f16_sdwa v94, v81, v64 dst_sel:DWORD dst_unused:UNUSED_PAD src0_sel:WORD_1 src1_sel:DWORD
	v_mul_f16_sdwa v96, v81, v35 dst_sel:DWORD dst_unused:UNUSED_PAD src0_sel:WORD_1 src1_sel:DWORD
	v_mul_f16_sdwa v98, v81, v67 dst_sel:DWORD dst_unused:UNUSED_PAD src0_sel:WORD_1 src1_sel:DWORD
	v_pk_mul_f16 v100, 0xbbeb, v83 op_sel_hi:[0,1]
	v_mul_f16_sdwa v35, v83, v35 dst_sel:DWORD dst_unused:UNUSED_PAD src0_sel:WORD_1 src1_sel:DWORD
	v_mul_f16_sdwa v102, v83, v68 dst_sel:DWORD dst_unused:UNUSED_PAD src0_sel:WORD_1 src1_sel:DWORD
	v_mul_f16_sdwa v104, v83, v69 dst_sel:DWORD dst_unused:UNUSED_PAD src0_sel:WORD_1 src1_sel:DWORD
	;; [unrolled: 4-line block ×4, first 2 shown]
	v_pk_mul_f16 v109, 0xbbad, v79 op_sel_hi:[0,1]
	v_pk_add_f16 v33, v33, v34
	v_mul_f16_sdwa v95, v80, v65 dst_sel:DWORD dst_unused:UNUSED_PAD src0_sel:WORD_1 src1_sel:DWORD
	v_mul_f16_sdwa v97, v80, v66 dst_sel:DWORD dst_unused:UNUSED_PAD src0_sel:WORD_1 src1_sel:DWORD
	;; [unrolled: 1-line block ×12, first 2 shown]
	v_pk_mul_f16 v110, 0x3abb, v80 op_sel_hi:[0,1]
	v_pk_mul_f16 v111, 0xb93d, v82 op_sel_hi:[0,1]
	;; [unrolled: 1-line block ×4, first 2 shown]
	v_pk_fma_f16 v34, 0x3abb, v79, v78 op_sel:[0,0,1] op_sel_hi:[0,1,0]
	v_pk_fma_f16 v78, 0x3abb, v79, v78 op_sel:[0,0,1] op_sel_hi:[0,1,0] neg_lo:[0,0,1] neg_hi:[0,0,1]
	v_fmamk_f16 v114, v79, 0x36a6, v72
	v_fmamk_f16 v115, v31, 0x3b47, v89
	v_fma_f16 v72, v79, 0x36a6, -v72
	v_fmac_f16_e32 v89, 0xbb47, v31
	v_fmamk_f16 v116, v79, 0xb08e, v74
	v_fmamk_f16 v117, v31, 0x3beb, v90
	v_fma_f16 v74, v79, 0xb08e, -v74
	v_fmac_f16_e32 v90, 0xbbeb, v31
	;; [unrolled: 4-line block ×3, first 2 shown]
	v_pk_fma_f16 v91, 0x36a6, v80, v93 op_sel:[0,0,1] op_sel_hi:[0,1,0]
	v_pk_fma_f16 v93, 0x36a6, v80, v93 op_sel:[0,0,1] op_sel_hi:[0,1,0] neg_lo:[0,0,1] neg_hi:[0,0,1]
	v_fmamk_f16 v120, v80, 0xb93d, v94
	v_fma_f16 v94, v80, 0xb93d, -v94
	v_fmamk_f16 v122, v80, 0xbbad, v96
	v_fma_f16 v96, v80, 0xbbad, -v96
	v_fmamk_f16 v124, v80, 0xb08e, v98
	v_fma_f16 v80, v80, 0xb08e, -v98
	v_pk_fma_f16 v98, 0xb08e, v82, v100 op_sel:[0,0,1] op_sel_hi:[0,1,0]
	v_pk_fma_f16 v100, 0xb08e, v82, v100 op_sel:[0,0,1] op_sel_hi:[0,1,0] neg_lo:[0,0,1] neg_hi:[0,0,1]
	v_fmamk_f16 v126, v82, 0xbbad, v35
	v_fma_f16 v35, v82, 0xbbad, -v35
	v_fmamk_f16 v128, v82, 0x36a6, v102
	v_fma_f16 v102, v82, 0x36a6, -v102
	v_fmamk_f16 v130, v82, 0x3abb, v104
	v_fma_f16 v82, v82, 0x3abb, -v104
	;; [unrolled: 8-line block ×4, first 2 shown]
	v_pk_fma_f16 v86, 0xb482, v31, v109 op_sel:[0,0,1] op_sel_hi:[0,1,0]
	v_pk_add_f16 v33, v33, v51
	v_alignbit_b32 v88, s0, v30, 16
	v_fmamk_f16 v121, v81, 0x3a0c, v95
	v_fmac_f16_e32 v95, 0xba0c, v81
	v_fmamk_f16 v123, v81, 0xb482, v97
	v_fmac_f16_e32 v97, 0x3482, v81
	;; [unrolled: 2-line block ×12, first 2 shown]
	v_pk_fma_f16 v31, 0xb482, v31, v109 op_sel:[0,0,1] op_sel_hi:[0,1,0] neg_lo:[0,1,0] neg_hi:[0,1,0]
	v_pk_fma_f16 v109, 0x3853, v81, v110 op_sel:[0,0,1] op_sel_hi:[0,1,0]
	v_pk_fma_f16 v81, 0x3853, v81, v110 op_sel:[0,0,1] op_sel_hi:[0,1,0] neg_lo:[0,1,0] neg_hi:[0,1,0]
	v_pk_fma_f16 v110, 0xba0c, v83, v111 op_sel:[0,0,1] op_sel_hi:[0,1,0]
	;; [unrolled: 2-line block ×4, first 2 shown]
	v_pk_fma_f16 v87, 0xbbeb, v87, v113 op_sel:[0,0,1] op_sel_hi:[0,1,0] neg_lo:[0,1,0] neg_hi:[0,1,0]
	v_bfi_b32 v51, 0xffff, v34, v78
	v_add_f16_e32 v113, v30, v114
	v_add_f16_sdwa v114, v30, v115 dst_sel:DWORD dst_unused:UNUSED_PAD src0_sel:WORD_1 src1_sel:DWORD
	v_add_f16_e32 v72, v30, v72
	v_add_f16_sdwa v89, v30, v89 dst_sel:DWORD dst_unused:UNUSED_PAD src0_sel:WORD_1 src1_sel:DWORD
	;; [unrolled: 2-line block ×6, first 2 shown]
	v_alignbit_b32 v147, s0, v86, 16
	v_bfi_b32 v34, 0xffff, v78, v34
	v_pk_add_f16 v33, v33, v52
	v_bfi_b32 v119, 0xffff, v91, v93
	v_bfi_b32 v144, 0xffff, v98, v100
	v_pk_add_f16 v31, v30, v31 op_sel:[1,0] op_sel_hi:[0,1]
	v_pk_add_f16 v86, v88, v86
	v_alignbit_b32 v88, s0, v109, 16
	v_bfi_b32 v78, 0xffff, v93, v91
	v_bfi_b32 v91, 0xffff, v100, v98
	v_pk_add_f16 v51, v30, v51
	v_add_f16_e32 v52, v120, v113
	v_add_f16_e32 v98, v121, v114
	;; [unrolled: 1-line block ×12, first 2 shown]
	v_pk_add_f16 v92, v30, v147
	v_pk_add_f16 v30, v30, v34
	;; [unrolled: 1-line block ×3, first 2 shown]
	v_alignbit_b32 v148, s0, v110, 16
	v_pk_add_f16 v31, v81, v31
	v_pk_add_f16 v81, v109, v86
	;; [unrolled: 1-line block ×3, first 2 shown]
	v_add_f16_e32 v51, v126, v52
	v_add_f16_e32 v52, v127, v98
	;; [unrolled: 1-line block ×11, first 2 shown]
	v_pk_add_f16 v82, v88, v92
	v_add_f16_e32 v80, v105, v80
	v_pk_add_f16 v30, v78, v30
	v_pk_add_f16 v33, v33, v63
	v_alignbit_b32 v149, s0, v111, 16
	v_pk_add_f16 v31, v83, v31
	v_pk_add_f16 v81, v110, v81
	v_add_f16_e32 v51, v132, v51
	v_add_f16_e32 v52, v133, v52
	;; [unrolled: 1-line block ×10, first 2 shown]
	v_pk_add_f16 v78, v148, v82
	v_add_f16_e32 v71, v71, v79
	v_add_f16_e32 v66, v66, v80
	v_bfi_b32 v93, 0xffff, v106, v104
	v_pk_add_f16 v30, v91, v30
	v_bfi_b32 v145, 0xffff, v104, v106
	v_pk_add_f16 v34, v144, v34
	v_pk_add_f16 v33, v33, v60
	v_alignbit_b32 v150, s0, v112, 16
	v_pk_add_f16 v31, v85, v31
	v_pk_add_f16 v79, v111, v81
	v_add_f16_e32 v60, v138, v51
	v_add_f16_e32 v80, v139, v52
	v_add_f16_e32 v51, v76, v35
	v_add_f16_e32 v52, v70, v62
	v_add_f16_e32 v35, v140, v63
	v_add_f16_e32 v62, v141, v67
	v_add_f16_e32 v63, v64, v69
	v_add_f16_e32 v64, v65, v72
	v_add_f16_e32 v65, v142, v74
	v_add_f16_e32 v67, v143, v75
	v_pk_add_f16 v69, v149, v78
	v_add_f16_e32 v68, v68, v71
	v_add_f16_e32 v66, v73, v66
	v_bfi_b32 v146, 0xffff, v84, v108
	v_bfi_b32 v84, 0xffff, v108, v84
	v_pk_add_f16 v30, v93, v30
	v_pk_add_f16 v34, v145, v34
	;; [unrolled: 1-line block ×5, first 2 shown]
	v_pack_b32_f16 v35, v35, v62
	v_pack_b32_f16 v62, v65, v67
	v_pk_add_f16 v65, v150, v69
	v_pack_b32_f16 v61, v60, v80
	v_pack_b32_f16 v63, v63, v64
	;; [unrolled: 1-line block ×3, first 2 shown]
	v_pk_add_f16 v60, v84, v30
	v_pack_b32_f16 v30, v51, v52
	v_pk_add_f16 v34, v146, v34
	v_pk_add_f16 v19, v33, v19
	v_alignbit_b32 v67, v70, v31, 16
	v_pack_b32_f16 v31, v65, v31
	ds_write2_b32 v53, v61, v35 offset0:2 offset1:3
	ds_write_b32 v53, v62 offset:16
	ds_write2_b32 v53, v64, v63 offset0:7 offset1:8
	ds_write2_b32 v53, v30, v60 offset0:9 offset1:10
	ds_write2_b32 v53, v19, v34 offset1:1
	ds_write2_b32 v53, v31, v67 offset0:5 offset1:6
	s_waitcnt lgkmcnt(0)
	s_barrier
	buffer_gl0_inv
	ds_read2_b32 v[30:31], v38 offset1:132
	ds_read2_b32 v[18:19], v18 offset0:8 offset1:228
	ds_read2_b32 v[34:35], v77 offset0:72 offset1:204
	;; [unrolled: 1-line block ×3, first 2 shown]
	ds_read_b32 v53, v38 offset:4928
	v_lshrrev_b32_e32 v61, 16, v60
	s_and_saveexec_b32 s1, vcc_lo
	s_cbranch_execz .LBB0_11
; %bb.10:
	ds_read_b32 v51, v38 offset:1584
	ds_read_b32 v60, v38 offset:3520
	;; [unrolled: 1-line block ×3, first 2 shown]
	s_waitcnt lgkmcnt(2)
	v_lshrrev_b32_e32 v52, 16, v51
	s_waitcnt lgkmcnt(1)
	v_lshrrev_b32_e32 v61, 16, v60
	;; [unrolled: 2-line block ×3, first 2 shown]
.LBB0_11:
	s_or_b32 exec_lo, exec_lo, s1
	s_waitcnt lgkmcnt(3)
	v_lshrrev_b32_e32 v63, 16, v19
	s_waitcnt lgkmcnt(2)
	v_lshrrev_b32_e32 v64, 16, v34
	;; [unrolled: 2-line block ×3, first 2 shown]
	v_lshrrev_b32_e32 v67, 16, v35
	v_mul_f16_sdwa v71, v28, v19 dst_sel:DWORD dst_unused:UNUSED_PAD src0_sel:WORD_1 src1_sel:DWORD
	v_mul_f16_sdwa v70, v28, v63 dst_sel:DWORD dst_unused:UNUSED_PAD src0_sel:WORD_1 src1_sel:DWORD
	;; [unrolled: 1-line block ×3, first 2 shown]
	v_lshrrev_b32_e32 v69, 16, v33
	v_mul_f16_sdwa v74, v29, v34 dst_sel:DWORD dst_unused:UNUSED_PAD src0_sel:WORD_1 src1_sel:DWORD
	s_waitcnt lgkmcnt(0)
	v_lshrrev_b32_e32 v73, 16, v53
	v_fmac_f16_e32 v70, v28, v19
	v_fma_f16 v19, v28, v63, -v71
	v_mul_f16_sdwa v28, v26, v66 dst_sel:DWORD dst_unused:UNUSED_PAD src0_sel:WORD_1 src1_sel:DWORD
	v_mul_f16_sdwa v63, v27, v67 dst_sel:DWORD dst_unused:UNUSED_PAD src0_sel:WORD_1 src1_sel:DWORD
	v_fmac_f16_e32 v72, v29, v34
	v_mul_f16_sdwa v34, v26, v32 dst_sel:DWORD dst_unused:UNUSED_PAD src0_sel:WORD_1 src1_sel:DWORD
	v_fma_f16 v29, v29, v64, -v74
	v_mul_f16_sdwa v64, v27, v35 dst_sel:DWORD dst_unused:UNUSED_PAD src0_sel:WORD_1 src1_sel:DWORD
	v_fmac_f16_e32 v28, v26, v32
	v_mul_f16_sdwa v32, v22, v69 dst_sel:DWORD dst_unused:UNUSED_PAD src0_sel:WORD_1 src1_sel:DWORD
	v_fmac_f16_e32 v63, v27, v35
	v_mul_f16_sdwa v35, v22, v33 dst_sel:DWORD dst_unused:UNUSED_PAD src0_sel:WORD_1 src1_sel:DWORD
	v_fma_f16 v34, v26, v66, -v34
	v_mul_f16_sdwa v26, v20, v61 dst_sel:DWORD dst_unused:UNUSED_PAD src0_sel:WORD_1 src1_sel:DWORD
	v_fma_f16 v27, v27, v67, -v64
	v_fmac_f16_e32 v32, v22, v33
	v_mul_f16_sdwa v33, v23, v73 dst_sel:DWORD dst_unused:UNUSED_PAD src0_sel:WORD_1 src1_sel:DWORD
	v_mul_f16_sdwa v64, v23, v53 dst_sel:DWORD dst_unused:UNUSED_PAD src0_sel:WORD_1 src1_sel:DWORD
	v_fma_f16 v35, v22, v69, -v35
	v_mul_f16_sdwa v22, v20, v60 dst_sel:DWORD dst_unused:UNUSED_PAD src0_sel:WORD_1 src1_sel:DWORD
	v_fmac_f16_e32 v26, v20, v60
	v_add_f16_e32 v60, v70, v72
	v_lshrrev_b32_e32 v62, 16, v30
	v_fmac_f16_e32 v33, v23, v53
	v_fma_f16 v53, v23, v73, -v64
	v_fma_f16 v23, v20, v61, -v22
	v_mul_f16_sdwa v22, v21, v37 dst_sel:DWORD dst_unused:UNUSED_PAD src0_sel:WORD_1 src1_sel:DWORD
	v_mul_f16_sdwa v20, v21, v36 dst_sel:DWORD dst_unused:UNUSED_PAD src0_sel:WORD_1 src1_sel:DWORD
	v_add_f16_e32 v61, v30, v70
	v_fma_f16 v60, -0.5, v60, v30
	v_sub_f16_e32 v30, v19, v29
	v_fmac_f16_e32 v22, v21, v36
	v_add_f16_e32 v36, v19, v29
	v_add_f16_e32 v19, v62, v19
	v_fma_f16 v21, v21, v37, -v20
	v_fmamk_f16 v37, v30, 0xbaee, v60
	v_fmac_f16_e32 v60, 0x3aee, v30
	v_add_f16_e32 v30, v28, v63
	v_add_f16_e32 v20, v61, v72
	v_fmac_f16_e32 v62, -0.5, v36
	v_sub_f16_e32 v36, v70, v72
	v_add_f16_e32 v61, v19, v29
	v_add_f16_e32 v19, v31, v28
	v_lshrrev_b32_e32 v65, 16, v31
	v_fmac_f16_e32 v31, -0.5, v30
	v_sub_f16_e32 v29, v34, v27
	v_fmamk_f16 v64, v36, 0x3aee, v62
	v_fmac_f16_e32 v62, 0xbaee, v36
	v_add_f16_e32 v36, v19, v63
	v_add_f16_e32 v19, v34, v27
	v_fmamk_f16 v66, v29, 0xbaee, v31
	v_add_f16_e32 v30, v65, v34
	v_fmac_f16_e32 v31, 0x3aee, v29
	v_add_f16_e32 v29, v32, v33
	v_fmac_f16_e32 v65, -0.5, v19
	v_sub_f16_e32 v19, v28, v63
	v_lshrrev_b32_e32 v68, 16, v18
	v_add_f16_e32 v34, v30, v27
	v_add_f16_e32 v27, v18, v32
	v_fmac_f16_e32 v18, -0.5, v29
	v_sub_f16_e32 v28, v35, v53
	v_fmamk_f16 v63, v19, 0x3aee, v65
	v_fmac_f16_e32 v65, 0xbaee, v19
	v_add_f16_e32 v19, v35, v53
	v_add_f16_e32 v67, v27, v33
	v_fmamk_f16 v69, v28, 0xbaee, v18
	v_fmac_f16_e32 v18, 0x3aee, v28
	v_add_f16_e32 v27, v68, v35
	v_add_f16_e32 v28, v22, v26
	;; [unrolled: 1-line block ×3, first 2 shown]
	v_fmac_f16_e32 v68, -0.5, v19
	v_sub_f16_e32 v19, v32, v33
	v_add_f16_e32 v32, v27, v53
	v_fma_f16 v27, -0.5, v28, v51
	v_sub_f16_e32 v29, v23, v21
	v_fma_f16 v28, -0.5, v30, v52
	v_sub_f16_e32 v30, v26, v22
	v_pack_b32_f16 v35, v20, v61
	v_pack_b32_f16 v37, v37, v64
	v_fmamk_f16 v33, v19, 0x3aee, v68
	v_fmac_f16_e32 v68, 0xbaee, v19
	v_fmamk_f16 v19, v29, 0x3aee, v27
	v_fmamk_f16 v20, v30, 0xbaee, v28
	s_barrier
	buffer_gl0_inv
	ds_write2_b32 v58, v35, v37 offset1:11
	v_pack_b32_f16 v35, v60, v62
	v_pack_b32_f16 v34, v36, v34
	;; [unrolled: 1-line block ×7, first 2 shown]
	ds_write_b32 v58, v35 offset:88
	ds_write2_b32 v57, v34, v36 offset1:11
	ds_write_b32 v57, v31 offset:88
	ds_write2_b32 v56, v32, v33 offset1:11
	ds_write_b32 v56, v18 offset:88
	s_and_saveexec_b32 s1, vcc_lo
	s_cbranch_execz .LBB0_13
; %bb.12:
	v_mul_f16_e32 v18, 0x3aee, v30
	v_add_f16_e32 v23, v23, v52
	v_mul_f16_e32 v29, 0x3aee, v29
	v_add_f16_e32 v26, v51, v26
	v_add_f16_e32 v18, v18, v28
	;; [unrolled: 1-line block ×3, first 2 shown]
	v_mad_u16 v23, v54, 33, v55
	v_mov_b32_e32 v28, 2
	v_add_f16_e32 v22, v22, v26
	v_sub_f16_e32 v26, v27, v29
	v_lshlrev_b32_sdwa v23, v28, v23 dst_sel:DWORD dst_unused:UNUSED_PAD src0_sel:DWORD src1_sel:WORD_0
	v_pack_b32_f16 v21, v22, v21
	v_pack_b32_f16 v18, v26, v18
	v_perm_b32 v22, v20, v19, 0x5040100
	ds_write2_b32 v23, v21, v18 offset1:11
	ds_write_b32 v23, v22 offset:88
.LBB0_13:
	s_or_b32 exec_lo, exec_lo, s1
	v_add_nc_u32_e32 v18, 0x400, v38
	s_waitcnt lgkmcnt(0)
	s_barrier
	buffer_gl0_inv
	ds_read2_b32 v[22:23], v38 offset1:132
	ds_read2_b32 v[26:27], v18 offset0:8 offset1:140
	v_add_nc_u32_e32 v28, 0x800, v38
	v_add_nc_u32_e32 v30, 0xc00, v38
	v_add_nc_u32_e32 v21, 0x1000, v38
	ds_read_b32 v34, v38 offset:5280
	ds_read2_b32 v[28:29], v28 offset0:16 offset1:148
	ds_read2_b32 v[30:31], v30 offset0:24 offset1:156
	;; [unrolled: 1-line block ×3, first 2 shown]
	s_waitcnt lgkmcnt(0)
	s_barrier
	buffer_gl0_inv
	v_lshrrev_b32_e32 v35, 16, v23
	v_mul_f16_sdwa v37, v4, v23 dst_sel:DWORD dst_unused:UNUSED_PAD src0_sel:WORD_1 src1_sel:DWORD
	v_lshrrev_b32_e32 v51, 16, v26
	v_lshrrev_b32_e32 v52, 16, v27
	v_mul_f16_sdwa v61, v6, v27 dst_sel:DWORD dst_unused:UNUSED_PAD src0_sel:WORD_1 src1_sel:DWORD
	v_lshrrev_b32_e32 v54, 16, v29
	v_mul_f16_sdwa v60, v4, v35 dst_sel:DWORD dst_unused:UNUSED_PAD src0_sel:WORD_1 src1_sel:DWORD
	v_fma_f16 v35, v4, v35, -v37
	v_mul_f16_sdwa v37, v5, v26 dst_sel:DWORD dst_unused:UNUSED_PAD src0_sel:WORD_1 src1_sel:DWORD
	v_mul_f16_sdwa v63, v5, v51 dst_sel:DWORD dst_unused:UNUSED_PAD src0_sel:WORD_1 src1_sel:DWORD
	;; [unrolled: 1-line block ×3, first 2 shown]
	v_lshrrev_b32_e32 v53, 16, v28
	v_fmac_f16_e32 v60, v4, v23
	v_fma_f16 v23, v5, v51, -v37
	v_fmac_f16_e32 v63, v5, v26
	v_fmac_f16_e32 v64, v6, v27
	v_fma_f16 v5, v6, v52, -v61
	v_mul_f16_sdwa v6, v0, v54 dst_sel:DWORD dst_unused:UNUSED_PAD src0_sel:WORD_1 src1_sel:DWORD
	v_lshrrev_b32_e32 v55, 16, v30
	v_mul_f16_sdwa v4, v7, v53 dst_sel:DWORD dst_unused:UNUSED_PAD src0_sel:WORD_1 src1_sel:DWORD
	v_mul_f16_sdwa v27, v0, v29 dst_sel:DWORD dst_unused:UNUSED_PAD src0_sel:WORD_1 src1_sel:DWORD
	;; [unrolled: 1-line block ×3, first 2 shown]
	v_fmac_f16_e32 v6, v0, v29
	v_add_f16_sdwa v29, v22, v35 dst_sel:DWORD dst_unused:UNUSED_PAD src0_sel:WORD_1 src1_sel:DWORD
	v_fmac_f16_e32 v4, v7, v28
	v_add_f16_e32 v26, v22, v60
	v_mul_f16_sdwa v28, v1, v55 dst_sel:DWORD dst_unused:UNUSED_PAD src0_sel:WORD_1 src1_sel:DWORD
	v_fma_f16 v0, v0, v54, -v27
	v_mul_f16_sdwa v27, v1, v30 dst_sel:DWORD dst_unused:UNUSED_PAD src0_sel:WORD_1 src1_sel:DWORD
	v_add_f16_e32 v29, v29, v23
	v_lshrrev_b32_e32 v56, 16, v31
	v_fma_f16 v7, v7, v53, -v62
	v_add_f16_e32 v26, v26, v63
	v_fmac_f16_e32 v28, v1, v30
	v_fma_f16 v1, v1, v55, -v27
	v_add_f16_e32 v27, v29, v5
	v_lshrrev_b32_e32 v57, 16, v32
	v_add_f16_e32 v26, v26, v64
	v_mul_f16_sdwa v30, v2, v56 dst_sel:DWORD dst_unused:UNUSED_PAD src0_sel:WORD_1 src1_sel:DWORD
	v_lshrrev_b32_e32 v58, 16, v33
	v_add_f16_e32 v27, v27, v7
	v_mul_f16_sdwa v37, v2, v31 dst_sel:DWORD dst_unused:UNUSED_PAD src0_sel:WORD_1 src1_sel:DWORD
	v_add_f16_e32 v26, v26, v4
	v_fmac_f16_e32 v30, v2, v31
	v_mul_f16_sdwa v29, v3, v57 dst_sel:DWORD dst_unused:UNUSED_PAD src0_sel:WORD_1 src1_sel:DWORD
	v_mul_f16_sdwa v31, v3, v32 dst_sel:DWORD dst_unused:UNUSED_PAD src0_sel:WORD_1 src1_sel:DWORD
	v_add_f16_e32 v27, v27, v0
	v_lshrrev_b32_e32 v36, 16, v34
	v_fma_f16 v2, v2, v56, -v37
	v_add_f16_e32 v26, v26, v6
	v_mul_f16_sdwa v37, v24, v58 dst_sel:DWORD dst_unused:UNUSED_PAD src0_sel:WORD_1 src1_sel:DWORD
	v_fmac_f16_e32 v29, v3, v32
	v_fma_f16 v3, v3, v57, -v31
	v_mul_f16_sdwa v31, v25, v34 dst_sel:DWORD dst_unused:UNUSED_PAD src0_sel:WORD_1 src1_sel:DWORD
	v_add_f16_e32 v27, v27, v1
	v_add_f16_e32 v26, v26, v28
	v_fmac_f16_e32 v37, v24, v33
	v_mul_f16_sdwa v32, v24, v33 dst_sel:DWORD dst_unused:UNUSED_PAD src0_sel:WORD_1 src1_sel:DWORD
	v_mul_f16_sdwa v33, v25, v36 dst_sel:DWORD dst_unused:UNUSED_PAD src0_sel:WORD_1 src1_sel:DWORD
	v_fma_f16 v31, v25, v36, -v31
	v_add_f16_e32 v27, v27, v2
	v_add_f16_e32 v26, v26, v30
	v_fma_f16 v24, v24, v58, -v32
	v_fmac_f16_e32 v33, v25, v34
	v_sub_f16_e32 v25, v35, v31
	v_add_f16_e32 v27, v27, v3
	v_add_f16_e32 v26, v26, v29
	;; [unrolled: 1-line block ×4, first 2 shown]
	v_mul_f16_e32 v35, 0xb853, v25
	v_add_f16_e32 v27, v27, v24
	v_sub_f16_e32 v68, v23, v24
	v_add_f16_e32 v26, v26, v37
	v_sub_f16_e32 v36, v60, v33
	v_mul_f16_e32 v51, 0x3abb, v32
	v_fmamk_f16 v52, v34, 0x3abb, v35
	v_add_f16_e32 v31, v27, v31
	v_mul_f16_e32 v27, 0xbb47, v25
	v_mul_f16_e32 v54, 0x36a6, v32
	;; [unrolled: 1-line block ×8, first 2 shown]
	v_add_f16_e32 v70, v63, v37
	v_mul_f16_e32 v71, 0xbb47, v68
	v_add_f16_e32 v23, v23, v24
	v_add_f16_e32 v33, v26, v33
	v_fmamk_f16 v26, v36, 0x3853, v51
	v_add_f16_e32 v52, v22, v52
	v_fma_f16 v35, v34, 0x3abb, -v35
	v_fmac_f16_e32 v51, 0xb853, v36
	v_fmamk_f16 v53, v34, 0x36a6, v27
	v_fmamk_f16 v56, v36, 0x3b47, v54
	v_fma_f16 v27, v34, 0x36a6, -v27
	v_fmac_f16_e32 v54, 0xbb47, v36
	v_fmamk_f16 v57, v34, 0xb08e, v55
	v_fmamk_f16 v60, v36, 0x3beb, v58
	;; [unrolled: 4-line block ×4, first 2 shown]
	v_fma_f16 v24, v34, 0xbbad, -v25
	v_fmac_f16_e32 v32, 0xb482, v36
	v_sub_f16_e32 v25, v63, v37
	v_fmamk_f16 v34, v70, 0x36a6, v71
	v_mul_f16_e32 v36, 0x36a6, v23
	v_add_f16_sdwa v26, v22, v26 dst_sel:DWORD dst_unused:UNUSED_PAD src0_sel:WORD_1 src1_sel:DWORD
	v_add_f16_e32 v35, v22, v35
	v_add_f16_sdwa v51, v22, v51 dst_sel:DWORD dst_unused:UNUSED_PAD src0_sel:WORD_1 src1_sel:DWORD
	v_add_f16_e32 v53, v22, v53
	;; [unrolled: 2-line block ×10, first 2 shown]
	v_fmamk_f16 v34, v25, 0x3b47, v36
	v_mul_f16_e32 v52, 0xba0c, v68
	v_fma_f16 v63, v70, 0x36a6, -v71
	v_fmac_f16_e32 v36, 0xbb47, v25
	v_mul_f16_e32 v69, 0xb93d, v23
	v_add_f16_e32 v26, v34, v26
	v_fmamk_f16 v34, v70, 0xb93d, v52
	v_add_f16_e32 v35, v63, v35
	v_add_f16_e32 v36, v36, v51
	v_fmamk_f16 v51, v25, 0x3a0c, v69
	v_mul_f16_e32 v63, 0x3482, v68
	v_add_f16_e32 v34, v34, v53
	v_fma_f16 v52, v70, 0xb93d, -v52
	v_fmac_f16_e32 v69, 0xba0c, v25
	v_add_f16_e32 v51, v51, v56
	v_fmamk_f16 v53, v70, 0xbbad, v63
	v_mul_f16_e32 v56, 0xbbad, v23
	v_add_f16_e32 v27, v52, v27
	v_add_f16_e32 v52, v69, v54
	v_mul_f16_e32 v54, 0x3beb, v68
	v_add_f16_e32 v53, v53, v57
	v_fmamk_f16 v57, v25, 0xb482, v56
	v_mul_f16_e32 v71, 0xb08e, v23
	v_fma_f16 v63, v70, 0xbbad, -v63
	v_fmamk_f16 v69, v70, 0xb08e, v54
	v_mul_f16_e32 v23, 0x3abb, v23
	v_add_f16_e32 v57, v57, v60
	v_fmamk_f16 v60, v25, 0xbbeb, v71
	v_fma_f16 v54, v70, 0xb08e, -v54
	v_fmac_f16_e32 v71, 0x3beb, v25
	v_fmac_f16_e32 v56, 0x3482, v25
	v_add_f16_e32 v55, v63, v55
	v_mul_f16_e32 v63, 0x3853, v68
	v_add_f16_e32 v60, v60, v66
	v_fmamk_f16 v66, v25, 0xb853, v23
	v_add_f16_e32 v54, v54, v61
	v_add_f16_e32 v61, v71, v62
	v_sub_f16_e32 v62, v5, v3
	v_add_f16_e32 v3, v5, v3
	v_add_f16_e32 v56, v56, v58
	;; [unrolled: 1-line block ×3, first 2 shown]
	v_fmamk_f16 v65, v70, 0x3abb, v63
	v_add_f16_e32 v37, v66, v37
	v_add_f16_e32 v66, v64, v29
	v_mul_f16_e32 v5, 0xbbeb, v62
	v_fma_f16 v63, v70, 0x3abb, -v63
	v_fmac_f16_e32 v23, 0x3853, v25
	v_sub_f16_e32 v25, v64, v29
	v_mul_f16_e32 v29, 0xb08e, v3
	v_fmamk_f16 v64, v66, 0xb08e, v5
	v_add_f16_e32 v24, v63, v24
	v_add_f16_e32 v22, v23, v22
	v_mul_f16_e32 v23, 0x3482, v62
	v_fmamk_f16 v63, v25, 0x3beb, v29
	v_add_f16_e32 v32, v64, v32
	v_fma_f16 v5, v66, 0xb08e, -v5
	v_fmac_f16_e32 v29, 0xbbeb, v25
	v_fmamk_f16 v64, v66, 0xbbad, v23
	v_add_f16_e32 v26, v63, v26
	v_mul_f16_e32 v63, 0xbbad, v3
	v_add_f16_e32 v5, v5, v35
	v_add_f16_e32 v29, v29, v36
	;; [unrolled: 1-line block ×3, first 2 shown]
	v_mul_f16_e32 v35, 0x3b47, v62
	v_fmamk_f16 v36, v25, 0xb482, v63
	v_mul_f16_e32 v64, 0x36a6, v3
	v_add_f16_e32 v65, v65, v67
	v_fma_f16 v23, v66, 0xbbad, -v23
	v_fmac_f16_e32 v63, 0x3482, v25
	v_fmamk_f16 v67, v66, 0x36a6, v35
	v_add_f16_e32 v36, v36, v51
	v_fmamk_f16 v51, v25, 0xbb47, v64
	v_add_f16_e32 v23, v23, v27
	v_add_f16_e32 v27, v63, v52
	v_add_f16_e32 v52, v67, v53
	v_mul_f16_e32 v53, 0xb853, v62
	v_fma_f16 v35, v66, 0x36a6, -v35
	v_fmac_f16_e32 v64, 0x3b47, v25
	v_add_f16_e32 v51, v51, v57
	v_mul_f16_e32 v57, 0x3abb, v3
	v_fmamk_f16 v63, v66, 0x3abb, v53
	v_add_f16_e32 v35, v35, v55
	v_add_f16_e32 v55, v64, v56
	v_mul_f16_e32 v56, 0xba0c, v62
	v_fmamk_f16 v62, v25, 0x3853, v57
	v_fma_f16 v53, v66, 0x3abb, -v53
	v_fmac_f16_e32 v57, 0xb853, v25
	v_add_f16_e32 v58, v63, v58
	v_fmamk_f16 v63, v66, 0xb93d, v56
	v_mul_f16_e32 v3, 0xb93d, v3
	v_add_f16_e32 v53, v53, v54
	v_add_f16_e32 v54, v57, v61
	v_sub_f16_e32 v61, v7, v2
	v_add_f16_e32 v2, v7, v2
	v_add_f16_e32 v60, v62, v60
	v_add_f16_e32 v57, v63, v65
	v_fmamk_f16 v62, v25, 0x3a0c, v3
	v_fma_f16 v56, v66, 0xb93d, -v56
	v_add_f16_e32 v7, v4, v30
	v_mul_f16_e32 v63, 0xba0c, v61
	v_fmac_f16_e32 v3, 0xba0c, v25
	v_sub_f16_e32 v4, v4, v30
	v_mul_f16_e32 v25, 0xb93d, v2
	v_add_f16_e32 v30, v62, v37
	v_fmamk_f16 v37, v7, 0xb93d, v63
	v_add_f16_e32 v24, v56, v24
	v_add_f16_e32 v3, v3, v22
	v_fmamk_f16 v22, v4, 0x3a0c, v25
	v_mul_f16_e32 v56, 0x3beb, v61
	v_fmac_f16_e32 v25, 0xba0c, v4
	v_add_f16_e32 v32, v37, v32
	v_fma_f16 v37, v7, 0xb93d, -v63
	v_add_f16_e32 v22, v22, v26
	v_fmamk_f16 v26, v7, 0xb08e, v56
	v_mul_f16_e32 v62, 0xb08e, v2
	v_add_f16_e32 v25, v25, v29
	v_mul_f16_e32 v29, 0xb853, v61
	v_add_f16_e32 v5, v37, v5
	v_add_f16_e32 v26, v26, v34
	v_fmamk_f16 v34, v4, 0xbbeb, v62
	v_fma_f16 v37, v7, 0xb08e, -v56
	v_fmamk_f16 v56, v7, 0x3abb, v29
	v_mul_f16_e32 v63, 0x3abb, v2
	v_fma_f16 v29, v7, 0x3abb, -v29
	v_add_f16_e32 v34, v34, v36
	v_add_f16_e32 v36, v37, v23
	;; [unrolled: 1-line block ×3, first 2 shown]
	v_fmamk_f16 v23, v4, 0x3853, v63
	v_mul_f16_e32 v52, 0xb482, v61
	v_fmac_f16_e32 v63, 0xb853, v4
	v_mul_f16_e32 v56, 0xbbad, v2
	v_add_f16_e32 v29, v29, v35
	v_add_f16_e32 v51, v23, v51
	v_fmamk_f16 v23, v7, 0xbbad, v52
	v_add_f16_e32 v35, v63, v55
	v_fmamk_f16 v55, v4, 0x3482, v56
	v_mul_f16_e32 v61, 0x3b47, v61
	v_fmac_f16_e32 v56, 0xb482, v4
	v_add_f16_e32 v58, v23, v58
	v_fma_f16 v23, v7, 0xbbad, -v52
	v_add_f16_e32 v52, v55, v60
	v_fmamk_f16 v55, v7, 0x36a6, v61
	v_add_f16_e32 v54, v56, v54
	v_sub_f16_e32 v56, v0, v1
	v_mul_f16_e32 v2, 0x36a6, v2
	v_add_f16_e32 v0, v0, v1
	v_add_f16_e32 v55, v55, v57
	;; [unrolled: 1-line block ×3, first 2 shown]
	v_mul_f16_e32 v1, 0xb482, v56
	v_fmac_f16_e32 v62, 0x3beb, v4
	v_add_f16_e32 v53, v23, v53
	v_fmamk_f16 v23, v4, 0xbb47, v2
	v_fmac_f16_e32 v2, 0x3b47, v4
	v_sub_f16_e32 v4, v6, v28
	v_mul_f16_e32 v6, 0xbbad, v0
	v_fmamk_f16 v28, v57, 0xbbad, v1
	v_fma_f16 v7, v7, 0x36a6, -v61
	v_add_f16_e32 v2, v2, v3
	v_fma_f16 v1, v57, 0xbbad, -v1
	v_fmamk_f16 v3, v4, 0x3482, v6
	v_add_f16_e32 v28, v28, v32
	v_mul_f16_e32 v32, 0x3abb, v0
	v_add_f16_e32 v7, v7, v24
	v_mul_f16_e32 v24, 0x3853, v56
	v_fmac_f16_e32 v6, 0xb482, v4
	v_add_f16_e32 v3, v3, v22
	v_add_f16_e32 v22, v1, v5
	v_mul_f16_e32 v1, 0xba0c, v56
	v_fmamk_f16 v5, v4, 0xb853, v32
	v_add_f16_e32 v27, v62, v27
	v_add_f16_e32 v30, v23, v30
	v_fmamk_f16 v60, v57, 0x3abb, v24
	v_add_f16_e32 v23, v6, v25
	v_fmac_f16_e32 v32, 0x3853, v4
	v_fmamk_f16 v25, v57, 0xb93d, v1
	v_add_f16_e32 v5, v5, v34
	v_mul_f16_e32 v34, 0xb93d, v0
	v_add_f16_e32 v6, v60, v26
	v_add_f16_e32 v26, v32, v27
	;; [unrolled: 1-line block ×3, first 2 shown]
	v_fma_f16 v1, v57, 0xb93d, -v1
	v_fmamk_f16 v25, v4, 0x3a0c, v34
	v_mul_f16_e32 v37, 0x36a6, v0
	v_fma_f16 v24, v57, 0x3abb, -v24
	v_fmac_f16_e32 v34, 0xba0c, v4
	v_mul_f16_e32 v0, 0xb08e, v0
	v_add_f16_e32 v51, v25, v51
	v_add_f16_e32 v25, v1, v29
	v_fmamk_f16 v1, v4, 0xbb47, v37
	v_add_f16_e32 v24, v24, v36
	v_mul_f16_e32 v36, 0x3b47, v56
	v_add_f16_e32 v27, v34, v35
	v_mul_f16_e32 v34, 0xbbeb, v56
	v_add_f16_e32 v1, v1, v52
	v_fmamk_f16 v52, v4, 0x3beb, v0
	v_fmamk_f16 v60, v57, 0x36a6, v36
	v_fma_f16 v35, v57, 0x36a6, -v36
	v_fmamk_f16 v36, v57, 0xb08e, v34
	v_fmac_f16_e32 v37, 0x3b47, v4
	v_fma_f16 v34, v57, 0xb08e, -v34
	v_fmac_f16_e32 v0, 0xbbeb, v4
	v_add_f16_e32 v4, v52, v30
	v_pack_b32_f16 v30, v33, v31
	v_pack_b32_f16 v3, v28, v3
	v_add_f16_e32 v29, v60, v58
	v_add_f16_e32 v36, v36, v55
	;; [unrolled: 1-line block ×6, first 2 shown]
	ds_write2_b32 v59, v30, v3 offset1:33
	v_pack_b32_f16 v2, v6, v5
	v_pack_b32_f16 v3, v32, v51
	;; [unrolled: 1-line block ×8, first 2 shown]
	v_add_nc_u32_e32 v28, 0x400, v59
	v_pack_b32_f16 v29, v22, v23
	ds_write2_b32 v59, v2, v3 offset0:66 offset1:99
	ds_write2_b32 v59, v1, v4 offset0:132 offset1:165
	;; [unrolled: 1-line block ×4, first 2 shown]
	ds_write_b32 v59, v29 offset:1320
	v_add_nc_u32_e32 v2, 0xa00, v38
	s_waitcnt lgkmcnt(0)
	s_barrier
	buffer_gl0_inv
	ds_read2_b32 v[0:1], v38 offset1:132
	ds_read2_b32 v[6:7], v18 offset0:107 offset1:239
	ds_read2_b32 v[4:5], v2 offset0:86 offset1:218
	;; [unrolled: 1-line block ×3, first 2 shown]
	s_and_saveexec_b32 s1, s0
	s_cbranch_execz .LBB0_15
; %bb.14:
	ds_read_b32 v25, v38 offset:1056
	ds_read_b32 v24, v38 offset:2508
	;; [unrolled: 1-line block ×4, first 2 shown]
	s_waitcnt lgkmcnt(3)
	v_lshrrev_b32_e32 v27, 16, v25
	s_waitcnt lgkmcnt(2)
	v_lshrrev_b32_e32 v26, 16, v24
	;; [unrolled: 2-line block ×4, first 2 shown]
.LBB0_15:
	s_or_b32 exec_lo, exec_lo, s1
	s_waitcnt lgkmcnt(2)
	v_lshrrev_b32_e32 v21, 16, v6
	s_waitcnt lgkmcnt(1)
	v_lshrrev_b32_e32 v28, 16, v4
	;; [unrolled: 2-line block ×3, first 2 shown]
	v_lshrrev_b32_e32 v31, 16, v7
	v_lshrrev_b32_e32 v32, 16, v5
	v_mul_f16_sdwa v33, v11, v21 dst_sel:DWORD dst_unused:UNUSED_PAD src0_sel:WORD_1 src1_sel:DWORD
	v_mul_f16_sdwa v34, v11, v6 dst_sel:DWORD dst_unused:UNUSED_PAD src0_sel:WORD_1 src1_sel:DWORD
	;; [unrolled: 1-line block ×4, first 2 shown]
	v_lshrrev_b32_e32 v37, 16, v3
	v_fmac_f16_e32 v33, v11, v6
	v_fma_f16 v6, v11, v21, -v34
	v_fmac_f16_e32 v35, v12, v4
	v_fma_f16 v4, v12, v28, -v36
	v_mul_f16_sdwa v11, v13, v29 dst_sel:DWORD dst_unused:UNUSED_PAD src0_sel:WORD_1 src1_sel:DWORD
	v_mul_f16_sdwa v12, v13, v2 dst_sel:DWORD dst_unused:UNUSED_PAD src0_sel:WORD_1 src1_sel:DWORD
	;; [unrolled: 1-line block ×5, first 2 shown]
	v_fmac_f16_e32 v11, v13, v2
	v_fma_f16 v2, v13, v29, -v12
	v_fmac_f16_e32 v21, v14, v7
	v_fma_f16 v7, v14, v31, -v28
	v_fmac_f16_e32 v34, v15, v5
	v_mul_f16_sdwa v5, v15, v5 dst_sel:DWORD dst_unused:UNUSED_PAD src0_sel:WORD_1 src1_sel:DWORD
	v_mul_f16_sdwa v12, v16, v37 dst_sel:DWORD dst_unused:UNUSED_PAD src0_sel:WORD_1 src1_sel:DWORD
	;; [unrolled: 1-line block ×3, first 2 shown]
	v_lshrrev_b32_e32 v18, 16, v0
	v_lshrrev_b32_e32 v30, 16, v1
	v_fma_f16 v5, v15, v32, -v5
	v_fmac_f16_e32 v12, v16, v3
	v_fma_f16 v14, v16, v37, -v14
	v_sub_f16_e32 v13, v0, v35
	v_sub_f16_e32 v11, v33, v11
	;; [unrolled: 1-line block ×8, first 2 shown]
	v_fma_f16 v0, v0, 2.0, -v13
	v_fma_f16 v28, v33, 2.0, -v11
	;; [unrolled: 1-line block ×8, first 2 shown]
	v_add_f16_e32 v2, v13, v2
	v_sub_f16_e32 v11, v4, v11
	v_sub_f16_e32 v3, v0, v28
	;; [unrolled: 1-line block ×5, first 2 shown]
	v_fma_f16 v13, v13, 2.0, -v2
	v_fma_f16 v4, v4, 2.0, -v11
	v_add_f16_e32 v14, v15, v14
	v_sub_f16_e32 v12, v5, v12
	v_fma_f16 v0, v0, 2.0, -v3
	v_fma_f16 v18, v18, 2.0, -v6
	;; [unrolled: 1-line block ×4, first 2 shown]
	v_pack_b32_f16 v4, v13, v4
	v_pack_b32_f16 v3, v3, v6
	v_fma_f16 v6, v15, 2.0, -v14
	v_fma_f16 v5, v5, 2.0, -v12
	v_pack_b32_f16 v2, v2, v11
	v_pack_b32_f16 v0, v0, v18
	;; [unrolled: 1-line block ×3, first 2 shown]
	ds_write_b32 v38, v4 offset:1452
	ds_write_b32 v38, v3 offset:2904
	v_pack_b32_f16 v3, v6, v5
	v_pack_b32_f16 v4, v16, v7
	;; [unrolled: 1-line block ×3, first 2 shown]
	ds_write_b32 v38, v2 offset:4356
	ds_write2_b32 v38, v0, v1 offset1:132
	ds_write_b32 v38, v3 offset:1980
	ds_write_b32 v38, v4 offset:3432
	ds_write_b32 v38, v5 offset:4884
	s_and_saveexec_b32 s1, s0
	s_cbranch_execz .LBB0_17
; %bb.16:
	v_mul_f16_sdwa v0, v9, v23 dst_sel:DWORD dst_unused:UNUSED_PAD src0_sel:WORD_1 src1_sel:DWORD
	v_mul_f16_sdwa v1, v8, v24 dst_sel:DWORD dst_unused:UNUSED_PAD src0_sel:WORD_1 src1_sel:DWORD
	v_mul_f16_sdwa v2, v9, v22 dst_sel:DWORD dst_unused:UNUSED_PAD src0_sel:WORD_1 src1_sel:DWORD
	v_mul_f16_sdwa v3, v8, v26 dst_sel:DWORD dst_unused:UNUSED_PAD src0_sel:WORD_1 src1_sel:DWORD
	v_mul_f16_sdwa v4, v10, v20 dst_sel:DWORD dst_unused:UNUSED_PAD src0_sel:WORD_1 src1_sel:DWORD
	v_mul_f16_sdwa v5, v10, v19 dst_sel:DWORD dst_unused:UNUSED_PAD src0_sel:WORD_1 src1_sel:DWORD
	v_fmac_f16_e32 v0, v9, v22
	v_fma_f16 v1, v8, v26, -v1
	v_fmac_f16_e32 v3, v8, v24
	v_fmac_f16_e32 v4, v10, v19
	v_fma_f16 v2, v9, v23, -v2
	v_fma_f16 v5, v10, v20, -v5
	v_sub_f16_e32 v0, v25, v0
	v_sub_f16_e32 v4, v3, v4
	;; [unrolled: 1-line block ×4, first 2 shown]
	v_fma_f16 v6, v25, 2.0, -v0
	v_fma_f16 v3, v3, 2.0, -v4
	;; [unrolled: 1-line block ×4, first 2 shown]
	v_add_f16_e32 v5, v0, v5
	v_sub_f16_e32 v4, v2, v4
	v_sub_f16_e32 v3, v6, v3
	v_sub_f16_e32 v1, v7, v1
	v_fma_f16 v0, v0, 2.0, -v5
	v_fma_f16 v2, v2, 2.0, -v4
	;; [unrolled: 1-line block ×4, first 2 shown]
	v_pack_b32_f16 v1, v3, v1
	v_pack_b32_f16 v0, v0, v2
	;; [unrolled: 1-line block ×4, first 2 shown]
	ds_write_b32 v38, v0 offset:2508
	ds_write_b32 v38, v1 offset:3960
	ds_write_b32 v38, v2 offset:1056
	ds_write_b32 v38, v3 offset:5412
.LBB0_17:
	s_or_b32 exec_lo, exec_lo, s1
	s_waitcnt lgkmcnt(0)
	s_barrier
	buffer_gl0_inv
	ds_read2_b32 v[0:1], v38 offset1:132
	v_add_nc_u32_e32 v2, 0x400, v38
	s_mov_b32 s6, 0x3a88d0c0
	s_mov_b32 s7, 0x3f469147
	s_mul_i32 s3, s8, 0x210
	ds_read2_b32 v[2:3], v2 offset0:8 offset1:140
	s_waitcnt lgkmcnt(1)
	v_lshrrev_b32_e32 v4, 16, v0
	v_mul_f16_sdwa v5, v49, v0 dst_sel:DWORD dst_unused:UNUSED_PAD src0_sel:WORD_1 src1_sel:DWORD
	v_lshrrev_b32_e32 v6, 16, v1
	v_mul_f16_sdwa v7, v50, v1 dst_sel:DWORD dst_unused:UNUSED_PAD src0_sel:WORD_1 src1_sel:DWORD
	v_mul_f16_sdwa v8, v49, v4 dst_sel:DWORD dst_unused:UNUSED_PAD src0_sel:WORD_1 src1_sel:DWORD
	v_fma_f16 v5, v49, v4, -v5
	v_mul_f16_sdwa v12, v50, v6 dst_sel:DWORD dst_unused:UNUSED_PAD src0_sel:WORD_1 src1_sel:DWORD
	v_fma_f16 v4, v50, v6, -v7
	s_waitcnt lgkmcnt(0)
	v_lshrrev_b32_e32 v19, 16, v2
	v_fmac_f16_e32 v8, v49, v0
	v_cvt_f32_f16_e32 v5, v5
	v_fmac_f16_e32 v12, v50, v1
	v_cvt_f32_f16_e32 v0, v4
	v_mul_f16_sdwa v14, v48, v19 dst_sel:DWORD dst_unused:UNUSED_PAD src0_sel:WORD_1 src1_sel:DWORD
	v_cvt_f32_f16_e32 v10, v8
	v_cvt_f64_f32_e32 v[4:5], v5
	v_cvt_f32_f16_e32 v12, v12
	v_cvt_f64_f32_e32 v[0:1], v0
	v_mad_u64_u32 v[6:7], null, s10, v17, 0
	v_cvt_f64_f32_e32 v[10:11], v10
	v_mad_u64_u32 v[8:9], null, s8, v47, 0
	v_cvt_f64_f32_e32 v[12:13], v12
	v_fmac_f16_e32 v14, v48, v2
	v_mul_f16_sdwa v2, v48, v2 dst_sel:DWORD dst_unused:UNUSED_PAD src0_sel:WORD_1 src1_sel:DWORD
	v_cvt_f32_f16_e32 v16, v14
	v_mad_u64_u32 v[14:15], null, s11, v17, v[7:8]
	v_fma_f16 v2, v48, v19, -v2
	v_cvt_f64_f32_e32 v[15:16], v16
	v_mul_f64 v[4:5], v[4:5], s[6:7]
	v_mov_b32_e32 v7, v14
	v_mul_f64 v[0:1], v[0:1], s[6:7]
	v_cvt_f32_f16_e32 v2, v2
	v_mad_u64_u32 v[17:18], null, s9, v47, v[9:10]
	v_mul_f64 v[10:11], v[10:11], s[6:7]
	v_lshlrev_b64 v[6:7], 2, v[6:7]
	v_mul_f64 v[12:13], v[12:13], s[6:7]
	v_mov_b32_e32 v9, v17
	v_add_co_u32 v14, vcc_lo, s4, v6
	v_add_co_ci_u32_e32 v17, vcc_lo, s5, v7, vcc_lo
	v_lshlrev_b64 v[8:9], 2, v[8:9]
	v_mul_f64 v[6:7], v[15:16], s[6:7]
	v_and_or_b32 v4, 0x1ff, v5, v4
	v_lshrrev_b32_e32 v15, 8, v5
	v_and_or_b32 v0, 0x1ff, v1, v0
	v_bfe_u32 v16, v5, 20, 11
	v_bfe_u32 v19, v1, 20, 11
	v_cmp_ne_u32_e32 vcc_lo, 0, v4
	v_lshrrev_b32_e32 v18, 8, v1
	v_and_or_b32 v10, 0x1ff, v11, v10
	v_lshrrev_b32_e32 v20, 8, v11
	v_bfe_u32 v21, v11, 20, 11
	v_cndmask_b32_e64 v4, 0, 1, vcc_lo
	v_cmp_ne_u32_e32 vcc_lo, 0, v0
	v_and_or_b32 v12, 0x1ff, v13, v12
	v_sub_nc_u32_e32 v22, 0x3f1, v16
	v_sub_nc_u32_e32 v26, 0x3f1, v21
	v_lshrrev_b32_e32 v23, 8, v13
	v_cndmask_b32_e64 v0, 0, 1, vcc_lo
	v_cmp_ne_u32_e32 vcc_lo, 0, v10
	v_sub_nc_u32_e32 v25, 0x3f1, v19
	v_and_or_b32 v4, 0xffe, v15, v4
	v_add_nc_u32_e32 v16, 0xfffffc10, v16
	v_med3_i32 v15, v22, 0, 13
	v_cndmask_b32_e64 v10, 0, 1, vcc_lo
	v_cmp_ne_u32_e32 vcc_lo, 0, v12
	v_and_or_b32 v0, 0xffe, v18, v0
	v_med3_i32 v18, v25, 0, 13
	v_or_b32_e32 v25, 0x1000, v4
	v_and_or_b32 v10, 0xffe, v20, v10
	v_cndmask_b32_e64 v12, 0, 1, vcc_lo
	v_med3_i32 v20, v26, 0, 13
	v_cmp_ne_u32_e32 vcc_lo, 0, v4
	v_add_nc_u32_e32 v21, 0xfffffc10, v21
	v_or_b32_e32 v26, 0x1000, v10
	v_and_or_b32 v12, 0xffe, v23, v12
	v_lshl_or_b32 v27, v16, 12, v4
	v_cndmask_b32_e64 v4, 0, 1, vcc_lo
	v_lshrrev_b32_e32 v28, v15, v25
	v_lshrrev_b32_e32 v23, v20, v26
	v_cmp_ne_u32_e32 vcc_lo, 0, v10
	v_bfe_u32 v24, v13, 20, 11
	v_lshl_or_b32 v30, v21, 12, v10
	v_lshlrev_b32_e32 v15, v15, v28
	v_lshlrev_b32_e32 v20, v20, v23
	v_cndmask_b32_e64 v10, 0, 1, vcc_lo
	v_sub_nc_u32_e32 v22, 0x3f1, v24
	v_add_nc_u32_e32 v24, 0xfffffc10, v24
	v_or_b32_e32 v29, 0x1000, v0
	v_cmp_ne_u32_e32 vcc_lo, v20, v26
	v_lshl_or_b32 v10, v10, 9, 0x7c00
	v_med3_i32 v22, v22, 0, 13
	v_lshl_or_b32 v26, v24, 12, v12
	v_lshrrev_b32_e32 v11, 16, v11
	v_cndmask_b32_e64 v20, 0, 1, vcc_lo
	v_cmp_ne_u32_e32 vcc_lo, v15, v25
	v_or_b32_e32 v25, 0x1000, v12
	v_lshl_or_b32 v4, v4, 9, 0x7c00
	v_lshrrev_b32_e32 v5, 16, v5
	v_or_b32_e32 v20, v23, v20
	v_cndmask_b32_e64 v15, 0, 1, vcc_lo
	v_cmp_gt_i32_e32 vcc_lo, 1, v21
	v_lshrrev_b32_e32 v23, v18, v29
	v_add_nc_u32_e32 v19, 0xfffffc10, v19
	v_and_or_b32 v6, 0x1ff, v7, v6
	v_or_b32_e32 v15, v28, v15
	v_lshrrev_b32_e32 v28, v22, v25
	v_cndmask_b32_e32 v20, v30, v20, vcc_lo
	v_cmp_gt_i32_e32 vcc_lo, 1, v16
	v_lshlrev_b32_e32 v18, v18, v23
	v_lshrrev_b32_e32 v13, 16, v13
	v_lshlrev_b32_e32 v22, v22, v28
	v_lshrrev_b32_e32 v1, 16, v1
	v_cndmask_b32_e32 v15, v27, v15, vcc_lo
	v_and_b32_e32 v27, 7, v20
	v_lshrrev_b32_e32 v20, 2, v20
	v_cmp_ne_u32_e32 vcc_lo, v22, v25
	v_and_b32_e32 v30, 7, v15
	v_cmp_eq_u32_e64 s0, 3, v27
	v_lshrrev_b32_e32 v15, 2, v15
	v_cndmask_b32_e64 v22, 0, 1, vcc_lo
	v_cmp_lt_i32_e32 vcc_lo, 5, v27
	v_cmp_lt_i32_e64 s1, 5, v30
	v_cmp_eq_u32_e64 s2, 3, v30
	v_or_b32_e32 v22, v28, v22
	s_or_b32 vcc_lo, s0, vcc_lo
	v_add_co_ci_u32_e32 v20, vcc_lo, 0, v20, vcc_lo
	s_or_b32 vcc_lo, s2, s1
	v_cmp_gt_i32_e64 s1, 1, v19
	v_add_co_ci_u32_e32 v15, vcc_lo, 0, v15, vcc_lo
	v_cmp_gt_i32_e32 vcc_lo, 31, v21
	s_mul_hi_u32 s2, s8, 0x210
	v_cndmask_b32_e32 v20, 0x7c00, v20, vcc_lo
	v_cmp_gt_i32_e32 vcc_lo, 31, v16
	v_cndmask_b32_e32 v15, 0x7c00, v15, vcc_lo
	v_cmp_eq_u32_e32 vcc_lo, 0x40f, v21
	v_cndmask_b32_e32 v10, v20, v10, vcc_lo
	v_cmp_gt_i32_e32 vcc_lo, 1, v24
	v_and_or_b32 v10, 0x8000, v11, v10
	v_cndmask_b32_e32 v20, v26, v22, vcc_lo
	v_cmp_eq_u32_e32 vcc_lo, 0x40f, v16
	v_lshrrev_b32_e32 v16, 16, v3
	v_cndmask_b32_e32 v4, v15, v4, vcc_lo
	v_cmp_ne_u32_e32 vcc_lo, v18, v29
	v_and_b32_e32 v15, 7, v20
	v_and_or_b32 v4, 0x8000, v5, v4
	v_cndmask_b32_e64 v11, 0, 1, vcc_lo
	v_and_b32_e32 v5, 0xffff, v10
	v_cmp_lt_i32_e32 vcc_lo, 5, v15
	v_cmp_eq_u32_e64 s0, 3, v15
	v_lshl_or_b32 v10, v19, 12, v0
	v_or_b32_e32 v11, v23, v11
	v_lshl_or_b32 v15, v4, 16, v5
	v_lshrrev_b32_e32 v4, 2, v20
	s_or_b32 vcc_lo, s0, vcc_lo
	v_cndmask_b32_e64 v10, v10, v11, s1
	v_cmp_eq_u32_e64 s1, 0x40f, v24
	v_add_co_ci_u32_e32 v11, vcc_lo, 0, v4, vcc_lo
	v_cmp_ne_u32_e32 vcc_lo, 0, v12
	v_cvt_f64_f32_e32 v[4:5], v2
	v_and_b32_e32 v2, 7, v10
	v_cndmask_b32_e64 v12, 0, 1, vcc_lo
	v_add_co_u32 v8, vcc_lo, v14, v8
	v_add_co_ci_u32_e32 v9, vcc_lo, v17, v9, vcc_lo
	v_cmp_gt_i32_e32 vcc_lo, 31, v24
	v_cmp_eq_u32_e64 s0, 3, v2
	v_lshl_or_b32 v12, v12, 9, 0x7c00
	v_mul_f16_sdwa v17, v46, v16 dst_sel:DWORD dst_unused:UNUSED_PAD src0_sel:WORD_1 src1_sel:DWORD
	global_store_dword v[8:9], v15, off
	v_cndmask_b32_e32 v11, 0x7c00, v11, vcc_lo
	v_cmp_lt_i32_e32 vcc_lo, 5, v2
	v_lshrrev_b32_e32 v2, 2, v10
	v_fmac_f16_e32 v17, v46, v3
	v_mul_f16_sdwa v3, v46, v3 dst_sel:DWORD dst_unused:UNUSED_PAD src0_sel:WORD_1 src1_sel:DWORD
	v_cndmask_b32_e64 v10, v11, v12, s1
	s_or_b32 vcc_lo, s0, vcc_lo
	v_lshrrev_b32_e32 v11, 8, v7
	v_add_co_ci_u32_e32 v2, vcc_lo, 0, v2, vcc_lo
	v_cmp_ne_u32_e32 vcc_lo, 0, v6
	v_bfe_u32 v12, v7, 20, 11
	v_mul_f64 v[4:5], v[4:5], s[6:7]
	v_and_or_b32 v10, 0x8000, v13, v10
	s_mul_i32 s0, s9, 0x210
	v_cndmask_b32_e64 v6, 0, 1, vcc_lo
	v_cmp_ne_u32_e32 vcc_lo, 0, v0
	s_add_i32 s2, s2, s0
	v_and_b32_e32 v10, 0xffff, v10
	v_fma_f16 v3, v46, v16, -v3
	v_and_or_b32 v6, 0xffe, v11, v6
	v_cndmask_b32_e64 v0, 0, 1, vcc_lo
	v_sub_nc_u32_e32 v11, 0x3f1, v12
	v_cmp_gt_i32_e32 vcc_lo, 31, v19
	v_add_nc_u32_e32 v12, 0xfffffc10, v12
	v_or_b32_e32 v14, 0x1000, v6
	v_lshl_or_b32 v0, v0, 9, 0x7c00
	v_med3_i32 v11, v11, 0, 13
	v_cndmask_b32_e32 v2, 0x7c00, v2, vcc_lo
	v_cmp_eq_u32_e32 vcc_lo, 0x40f, v19
	v_cvt_f32_f16_e32 v3, v3
	v_lshrrev_b32_e32 v7, 16, v7
	v_cndmask_b32_e32 v0, v2, v0, vcc_lo
	v_lshrrev_b32_e32 v2, v11, v14
	v_bfe_u32 v15, v5, 20, 11
	v_and_or_b32 v13, 0x8000, v1, v0
	v_lshlrev_b32_e32 v11, v11, v2
	v_and_or_b32 v0, 0x1ff, v5, v4
	v_cvt_f32_f16_e32 v1, v17
	v_lshl_or_b32 v13, v13, 16, v10
	v_cmp_ne_u32_e32 vcc_lo, v11, v14
	v_lshrrev_b32_e32 v14, 8, v5
	v_cndmask_b32_e64 v4, 0, 1, vcc_lo
	v_cmp_ne_u32_e32 vcc_lo, 0, v0
	v_cvt_f64_f32_e32 v[0:1], v1
	v_or_b32_e32 v2, v2, v4
	v_cndmask_b32_e64 v11, 0, 1, vcc_lo
	v_lshl_or_b32 v4, v12, 12, v6
	v_cmp_gt_i32_e32 vcc_lo, 1, v12
	v_and_or_b32 v14, 0xffe, v14, v11
	v_sub_nc_u32_e32 v11, 0x3f1, v15
	v_cndmask_b32_e32 v2, v4, v2, vcc_lo
	v_add_co_u32 v8, vcc_lo, v8, s3
	v_or_b32_e32 v4, 0x1000, v14
	v_med3_i32 v11, v11, 0, 13
	v_and_b32_e32 v10, 7, v2
	v_add_co_ci_u32_e32 v9, vcc_lo, s2, v9, vcc_lo
	v_lshrrev_b32_e32 v2, 2, v2
	v_lshrrev_b32_e32 v17, v11, v4
	v_cmp_lt_i32_e32 vcc_lo, 5, v10
	v_mul_f64 v[0:1], v[0:1], s[6:7]
	v_cmp_eq_u32_e64 s0, 3, v10
	v_add_nc_u32_e32 v15, 0xfffffc10, v15
	v_lshlrev_b32_e32 v11, v11, v17
	v_add_nc_u32_e32 v10, 0x800, v38
	global_store_dword v[8:9], v13, off
	s_or_b32 vcc_lo, s0, vcc_lo
	v_cmp_ne_u32_e64 s1, v11, v4
	v_add_co_ci_u32_e32 v16, vcc_lo, 0, v2, vcc_lo
	v_cmp_ne_u32_e32 vcc_lo, 0, v6
	v_cvt_f64_f32_e32 v[2:3], v3
	v_cndmask_b32_e64 v4, 0, 1, s1
	ds_read2_b32 v[10:11], v10 offset0:16 offset1:148
	v_cndmask_b32_e64 v6, 0, 1, vcc_lo
	v_cmp_gt_i32_e32 vcc_lo, 1, v15
	v_or_b32_e32 v4, v17, v4
	v_lshl_or_b32 v17, v15, 12, v14
	v_lshl_or_b32 v6, v6, 9, 0x7c00
	v_and_or_b32 v0, 0x1ff, v1, v0
	v_lshrrev_b32_e32 v18, 8, v1
	v_cndmask_b32_e32 v4, v17, v4, vcc_lo
	v_cmp_gt_i32_e32 vcc_lo, 31, v12
	v_bfe_u32 v19, v1, 20, 11
	v_lshrrev_b32_e32 v1, 16, v1
	v_and_b32_e32 v17, 7, v4
	v_cndmask_b32_e32 v16, 0x7c00, v16, vcc_lo
	v_cmp_ne_u32_e32 vcc_lo, 0, v0
	v_lshrrev_b32_e32 v4, 2, v4
	v_cmp_eq_u32_e64 s0, 3, v17
	v_mul_f64 v[2:3], v[2:3], s[6:7]
	v_cndmask_b32_e64 v0, 0, 1, vcc_lo
	v_cmp_eq_u32_e32 vcc_lo, 0x40f, v12
	v_sub_nc_u32_e32 v12, 0x3f1, v19
	v_and_or_b32 v0, 0xffe, v18, v0
	v_cndmask_b32_e32 v6, v16, v6, vcc_lo
	v_cmp_lt_i32_e32 vcc_lo, 5, v17
	s_waitcnt lgkmcnt(0)
	v_lshrrev_b32_e32 v16, 16, v10
	v_med3_i32 v12, v12, 0, 13
	v_or_b32_e32 v17, 0x1000, v0
	v_and_or_b32 v6, 0x8000, v7, v6
	s_or_b32 vcc_lo, s0, vcc_lo
	v_mul_f16_sdwa v18, v45, v16 dst_sel:DWORD dst_unused:UNUSED_PAD src0_sel:WORD_1 src1_sel:DWORD
	v_add_co_ci_u32_e32 v4, vcc_lo, 0, v4, vcc_lo
	v_cmp_ne_u32_e32 vcc_lo, 0, v14
	v_lshrrev_b32_e32 v20, v12, v17
	v_fmac_f16_e32 v18, v45, v10
	v_and_b32_e32 v6, 0xffff, v6
	v_cndmask_b32_e64 v14, 0, 1, vcc_lo
	v_cmp_gt_i32_e32 vcc_lo, 31, v15
	v_lshlrev_b32_e32 v7, v12, v20
	v_cvt_f32_f16_e32 v12, v18
	v_and_or_b32 v2, 0x1ff, v3, v2
	v_lshl_or_b32 v14, v14, 9, 0x7c00
	v_cndmask_b32_e32 v4, 0x7c00, v4, vcc_lo
	v_cmp_eq_u32_e32 vcc_lo, 0x40f, v15
	v_lshrrev_b32_e32 v15, 16, v5
	v_bfe_u32 v18, v3, 20, 11
	v_cndmask_b32_e32 v14, v4, v14, vcc_lo
	v_cmp_ne_u32_e32 vcc_lo, v7, v17
	v_cvt_f64_f32_e32 v[4:5], v12
	v_add_nc_u32_e32 v12, 0xfffffc10, v19
	v_lshrrev_b32_e32 v17, 8, v3
	v_and_or_b32 v14, 0x8000, v15, v14
	v_cndmask_b32_e64 v7, 0, 1, vcc_lo
	v_cmp_ne_u32_e32 vcc_lo, 0, v2
	v_lshl_or_b32 v15, v12, 12, v0
	v_lshrrev_b32_e32 v3, 16, v3
	v_or_b32_e32 v7, v20, v7
	v_cndmask_b32_e64 v2, 0, 1, vcc_lo
	v_cmp_gt_i32_e32 vcc_lo, 1, v12
	v_and_or_b32 v2, 0xffe, v17, v2
	v_sub_nc_u32_e32 v17, 0x3f1, v18
	v_cndmask_b32_e32 v15, v15, v7, vcc_lo
	v_mul_f16_sdwa v7, v45, v10 dst_sel:DWORD dst_unused:UNUSED_PAD src0_sel:WORD_1 src1_sel:DWORD
	v_lshl_or_b32 v10, v14, 16, v6
	v_or_b32_e32 v19, 0x1000, v2
	v_med3_i32 v17, v17, 0, 13
	v_and_b32_e32 v13, 7, v15
	v_mul_f64 v[4:5], v[4:5], s[6:7]
	v_add_co_u32 v6, vcc_lo, v8, s3
	v_lshrrev_b32_e32 v14, v17, v19
	v_fma_f16 v16, v45, v16, -v7
	v_add_co_ci_u32_e32 v7, vcc_lo, s2, v9, vcc_lo
	v_cmp_lt_i32_e32 vcc_lo, 5, v13
	v_cmp_eq_u32_e64 s0, 3, v13
	v_lshrrev_b32_e32 v13, 2, v15
	v_lshlrev_b32_e32 v8, v17, v14
	v_cvt_f32_f16_e32 v9, v16
	v_add_nc_u32_e32 v16, 0xfffffc10, v18
	s_or_b32 vcc_lo, s0, vcc_lo
	v_lshrrev_b32_e32 v18, 16, v11
	v_add_co_ci_u32_e32 v13, vcc_lo, 0, v13, vcc_lo
	v_cmp_ne_u32_e64 s1, v8, v19
	v_cmp_ne_u32_e32 vcc_lo, 0, v0
	v_cvt_f64_f32_e32 v[8:9], v9
	global_store_dword v[6:7], v10, off
	v_cndmask_b32_e64 v15, 0, 1, s1
	v_cndmask_b32_e64 v0, 0, 1, vcc_lo
	v_cmp_gt_i32_e32 vcc_lo, 31, v12
	v_and_or_b32 v4, 0x1ff, v5, v4
	v_bfe_u32 v17, v5, 20, 11
	v_or_b32_e32 v14, v14, v15
	v_lshl_or_b32 v15, v16, 12, v2
	v_cndmask_b32_e32 v13, 0x7c00, v13, vcc_lo
	v_cmp_gt_i32_e32 vcc_lo, 1, v16
	v_lshl_or_b32 v0, v0, 9, 0x7c00
	v_cndmask_b32_e32 v14, v15, v14, vcc_lo
	v_cmp_ne_u32_e32 vcc_lo, 0, v4
	v_lshrrev_b32_e32 v15, 8, v5
	v_lshrrev_b32_e32 v5, 16, v5
	v_cndmask_b32_e64 v4, 0, 1, vcc_lo
	v_cmp_eq_u32_e32 vcc_lo, 0x40f, v12
	v_and_b32_e32 v12, 7, v14
	v_mul_f64 v[8:9], v[8:9], s[6:7]
	v_and_or_b32 v4, 0xffe, v15, v4
	v_cndmask_b32_e32 v0, v13, v0, vcc_lo
	v_sub_nc_u32_e32 v13, 0x3f1, v17
	v_cmp_lt_i32_e32 vcc_lo, 5, v12
	v_cmp_eq_u32_e64 s0, 3, v12
	v_or_b32_e32 v15, 0x1000, v4
	v_and_or_b32 v12, 0x8000, v1, v0
	v_lshrrev_b32_e32 v0, 2, v14
	v_med3_i32 v13, v13, 0, 13
	s_or_b32 vcc_lo, s0, vcc_lo
	v_mul_f16_sdwa v1, v44, v18 dst_sel:DWORD dst_unused:UNUSED_PAD src0_sel:WORD_1 src1_sel:DWORD
	v_add_nc_u32_e32 v17, 0xfffffc10, v17
	v_add_co_ci_u32_e32 v0, vcc_lo, 0, v0, vcc_lo
	v_lshrrev_b32_e32 v14, v13, v15
	v_cmp_ne_u32_e32 vcc_lo, 0, v2
	v_fmac_f16_e32 v1, v44, v11
	v_mul_f16_sdwa v11, v44, v11 dst_sel:DWORD dst_unused:UNUSED_PAD src0_sel:WORD_1 src1_sel:DWORD
	v_lshlrev_b32_e32 v13, v13, v14
	v_cndmask_b32_e64 v2, 0, 1, vcc_lo
	v_cmp_gt_i32_e32 vcc_lo, 31, v16
	v_and_or_b32 v8, 0x1ff, v9, v8
	v_bfe_u32 v20, v9, 20, 11
	v_lshl_or_b32 v2, v2, 9, 0x7c00
	v_cndmask_b32_e32 v19, 0x7c00, v0, vcc_lo
	v_cmp_ne_u32_e32 vcc_lo, v13, v15
	v_cvt_f32_f16_e32 v0, v1
	v_lshrrev_b32_e32 v15, 8, v9
	v_lshrrev_b32_e32 v9, 16, v9
	v_cndmask_b32_e64 v13, 0, 1, vcc_lo
	v_cmp_ne_u32_e32 vcc_lo, 0, v8
	v_cvt_f64_f32_e32 v[0:1], v0
	v_or_b32_e32 v13, v14, v13
	v_cndmask_b32_e64 v8, 0, 1, vcc_lo
	v_cmp_eq_u32_e32 vcc_lo, 0x40f, v16
	v_lshl_or_b32 v14, v17, 12, v4
	v_and_or_b32 v8, 0xffe, v15, v8
	v_sub_nc_u32_e32 v15, 0x3f1, v20
	v_cndmask_b32_e32 v2, v19, v2, vcc_lo
	v_cmp_gt_i32_e32 vcc_lo, 1, v17
	v_or_b32_e32 v16, 0x1000, v8
	v_med3_i32 v15, v15, 0, 13
	v_and_or_b32 v2, 0x8000, v3, v2
	v_cndmask_b32_e32 v13, v14, v13, vcc_lo
	v_and_b32_e32 v3, 0xffff, v12
	v_lshrrev_b32_e32 v10, v15, v16
	v_and_b32_e32 v12, 7, v13
	v_mul_f64 v[0:1], v[0:1], s[6:7]
	v_lshl_or_b32 v14, v2, 16, v3
	v_lshlrev_b32_e32 v2, v15, v10
	v_fma_f16 v3, v44, v18, -v11
	v_cmp_lt_i32_e32 vcc_lo, 5, v12
	v_cmp_eq_u32_e64 s0, 3, v12
	v_lshrrev_b32_e32 v11, 2, v13
	v_cmp_ne_u32_e64 s1, v2, v16
	v_cvt_f32_f16_e32 v3, v3
	v_add_nc_u32_e32 v12, 0xfffffc10, v20
	s_or_b32 vcc_lo, s0, vcc_lo
	v_add_nc_u32_e32 v15, 0xc00, v38
	v_cndmask_b32_e64 v2, 0, 1, s1
	v_add_co_ci_u32_e32 v13, vcc_lo, 0, v11, vcc_lo
	v_cmp_ne_u32_e32 vcc_lo, 0, v4
	v_lshl_or_b32 v11, v12, 12, v8
	v_or_b32_e32 v10, v10, v2
	v_cvt_f64_f32_e32 v[2:3], v3
	v_cndmask_b32_e64 v4, 0, 1, vcc_lo
	v_cmp_gt_i32_e32 vcc_lo, 1, v12
	v_and_or_b32 v0, 0x1ff, v1, v0
	v_lshrrev_b32_e32 v18, 8, v1
	v_bfe_u32 v19, v1, 20, 11
	v_lshl_or_b32 v4, v4, 9, 0x7c00
	v_cndmask_b32_e32 v16, v11, v10, vcc_lo
	v_cmp_gt_i32_e32 vcc_lo, 31, v17
	ds_read2_b32 v[10:11], v15 offset0:24 offset1:156
	v_and_b32_e32 v15, 7, v16
	v_cndmask_b32_e32 v13, 0x7c00, v13, vcc_lo
	v_cmp_ne_u32_e32 vcc_lo, 0, v0
	v_cmp_eq_u32_e64 s0, 3, v15
	v_cndmask_b32_e64 v0, 0, 1, vcc_lo
	v_cmp_eq_u32_e32 vcc_lo, 0x40f, v17
	v_mul_f64 v[2:3], v[2:3], s[6:7]
	v_and_or_b32 v0, 0xffe, v18, v0
	v_cndmask_b32_e32 v4, v13, v4, vcc_lo
	v_cmp_lt_i32_e32 vcc_lo, 5, v15
	v_lshrrev_b32_e32 v15, 2, v16
	v_sub_nc_u32_e32 v13, 0x3f1, v19
	v_or_b32_e32 v16, 0x1000, v0
	s_waitcnt lgkmcnt(0)
	v_lshrrev_b32_e32 v17, 16, v10
	s_or_b32 vcc_lo, s0, vcc_lo
	v_and_or_b32 v21, 0x8000, v5, v4
	v_add_co_ci_u32_e32 v15, vcc_lo, 0, v15, vcc_lo
	v_med3_i32 v13, v13, 0, 13
	v_cmp_ne_u32_e32 vcc_lo, 0, v8
	v_mul_f16_sdwa v20, v43, v17 dst_sel:DWORD dst_unused:UNUSED_PAD src0_sel:WORD_1 src1_sel:DWORD
	v_lshrrev_b32_e32 v18, v13, v16
	v_cndmask_b32_e64 v8, 0, 1, vcc_lo
	v_cmp_gt_i32_e32 vcc_lo, 31, v12
	v_fmac_f16_e32 v20, v43, v10
	v_and_or_b32 v2, 0x1ff, v3, v2
	v_lshlrev_b32_e32 v4, v13, v18
	v_lshl_or_b32 v8, v8, 9, 0x7c00
	v_cndmask_b32_e32 v15, 0x7c00, v15, vcc_lo
	v_cmp_eq_u32_e32 vcc_lo, 0x40f, v12
	v_cvt_f32_f16_e32 v5, v20
	v_lshrrev_b32_e32 v13, 8, v3
	v_mul_f16_sdwa v10, v43, v10 dst_sel:DWORD dst_unused:UNUSED_PAD src0_sel:WORD_1 src1_sel:DWORD
	v_cndmask_b32_e32 v8, v15, v8, vcc_lo
	v_cmp_ne_u32_e32 vcc_lo, v4, v16
	v_cvt_f64_f32_e32 v[4:5], v5
	v_bfe_u32 v16, v3, 20, 11
	v_add_nc_u32_e32 v15, 0xfffffc10, v19
	v_and_or_b32 v8, 0x8000, v9, v8
	v_cndmask_b32_e64 v12, 0, 1, vcc_lo
	v_cmp_ne_u32_e32 vcc_lo, 0, v2
	v_fma_f16 v10, v43, v17, -v10
	v_or_b32_e32 v9, v18, v12
	v_cndmask_b32_e64 v2, 0, 1, vcc_lo
	v_lshl_or_b32 v12, v15, 12, v0
	v_cmp_gt_i32_e32 vcc_lo, 1, v15
	v_and_b32_e32 v18, 0xffff, v21
	v_cvt_f32_f16_e32 v10, v10
	v_and_or_b32 v2, 0xffe, v13, v2
	v_sub_nc_u32_e32 v13, 0x3f1, v16
	v_cndmask_b32_e32 v12, v12, v9, vcc_lo
	v_add_co_u32 v6, vcc_lo, v6, s3
	v_or_b32_e32 v19, 0x1000, v2
	v_med3_i32 v13, v13, 0, 13
	v_add_co_ci_u32_e32 v7, vcc_lo, s2, v7, vcc_lo
	v_and_b32_e32 v20, 7, v12
	v_mul_f64 v[4:5], v[4:5], s[6:7]
	v_lshrrev_b32_e32 v21, v13, v19
	v_lshl_or_b32 v18, v8, 16, v18
	v_add_co_u32 v8, vcc_lo, v6, s3
	v_add_co_ci_u32_e32 v9, vcc_lo, s2, v7, vcc_lo
	v_lshlrev_b32_e32 v13, v13, v21
	v_cmp_lt_i32_e32 vcc_lo, 5, v20
	v_cmp_eq_u32_e64 s0, 3, v20
	v_lshrrev_b32_e32 v12, 2, v12
	v_add_nc_u32_e32 v16, 0xfffffc10, v16
	v_cmp_ne_u32_e64 s1, v13, v19
	s_or_b32 vcc_lo, s0, vcc_lo
	v_add_co_ci_u32_e32 v17, vcc_lo, 0, v12, vcc_lo
	v_cndmask_b32_e64 v13, 0, 1, s1
	v_cmp_ne_u32_e32 vcc_lo, 0, v0
	v_lshl_or_b32 v20, v16, 12, v2
	v_and_or_b32 v4, 0x1ff, v5, v4
	v_or_b32_e32 v19, v21, v13
	v_cndmask_b32_e64 v0, 0, 1, vcc_lo
	v_cmp_gt_i32_e32 vcc_lo, 1, v16
	v_cvt_f64_f32_e32 v[12:13], v10
	v_bfe_u32 v21, v5, 20, 11
	v_lshl_or_b32 v0, v0, 9, 0x7c00
	v_cndmask_b32_e32 v10, v20, v19, vcc_lo
	v_cmp_gt_i32_e32 vcc_lo, 31, v15
	v_lshrrev_b32_e32 v20, 8, v5
	v_and_b32_e32 v19, 7, v10
	v_cndmask_b32_e32 v17, 0x7c00, v17, vcc_lo
	v_cmp_ne_u32_e32 vcc_lo, 0, v4
	v_lshrrev_b32_e32 v10, 2, v10
	v_cmp_eq_u32_e64 s0, 3, v19
	v_cndmask_b32_e64 v4, 0, 1, vcc_lo
	v_cmp_eq_u32_e32 vcc_lo, 0x40f, v15
	v_and_or_b32 v4, 0xffe, v20, v4
	v_cndmask_b32_e32 v15, v17, v0, vcc_lo
	v_cmp_lt_i32_e32 vcc_lo, 5, v19
	v_sub_nc_u32_e32 v0, 0x3f1, v21
	v_lshrrev_b32_e32 v19, 16, v11
	v_lshrrev_b32_e32 v17, 16, v1
	v_or_b32_e32 v20, 0x1000, v4
	s_or_b32 vcc_lo, s0, vcc_lo
	v_med3_i32 v22, v0, 0, 13
	v_mul_f64 v[0:1], v[12:13], s[6:7]
	v_add_co_ci_u32_e32 v10, vcc_lo, 0, v10, vcc_lo
	v_mul_f16_sdwa v12, v42, v19 dst_sel:DWORD dst_unused:UNUSED_PAD src0_sel:WORD_1 src1_sel:DWORD
	v_cmp_ne_u32_e32 vcc_lo, 0, v2
	v_lshrrev_b32_e32 v13, v22, v20
	v_and_or_b32 v15, 0x8000, v17, v15
	v_fmac_f16_e32 v12, v42, v11
	v_cndmask_b32_e64 v2, 0, 1, vcc_lo
	v_cmp_gt_i32_e32 vcc_lo, 31, v16
	v_lshlrev_b32_e32 v17, v22, v13
	v_and_b32_e32 v15, 0xffff, v15
	v_cvt_f32_f16_e32 v12, v12
	v_lshl_or_b32 v2, v2, 9, 0x7c00
	v_cndmask_b32_e32 v10, 0x7c00, v10, vcc_lo
	v_cmp_eq_u32_e32 vcc_lo, 0x40f, v16
	v_lshrrev_b32_e32 v16, 16, v3
	v_cndmask_b32_e32 v10, v10, v2, vcc_lo
	v_cvt_f64_f32_e32 v[2:3], v12
	v_cmp_ne_u32_e32 vcc_lo, v17, v20
	v_and_or_b32 v0, 0x1ff, v1, v0
	v_add_nc_u32_e32 v17, 0xfffffc10, v21
	v_and_or_b32 v10, 0x8000, v16, v10
	v_lshrrev_b32_e32 v16, 8, v1
	v_cndmask_b32_e64 v12, 0, 1, vcc_lo
	v_cmp_ne_u32_e32 vcc_lo, 0, v0
	v_bfe_u32 v20, v1, 20, 11
	v_lshl_or_b32 v10, v10, 16, v15
	v_or_b32_e32 v12, v13, v12
	v_cndmask_b32_e64 v0, 0, 1, vcc_lo
	v_lshl_or_b32 v13, v17, 12, v4
	v_cmp_gt_i32_e32 vcc_lo, 1, v17
	v_and_or_b32 v0, 0xffe, v16, v0
	v_sub_nc_u32_e32 v16, 0x3f1, v20
	v_cndmask_b32_e32 v15, v13, v12, vcc_lo
	v_add_co_u32 v12, vcc_lo, v8, s3
	v_mul_f64 v[2:3], v[2:3], s[6:7]
	v_or_b32_e32 v21, 0x1000, v0
	v_med3_i32 v16, v16, 0, 13
	v_add_co_ci_u32_e32 v13, vcc_lo, s2, v9, vcc_lo
	v_and_b32_e32 v22, 7, v15
	global_store_dword v[6:7], v14, off
	global_store_dword v[8:9], v18, off
	global_store_dword v[12:13], v10, off
	v_lshrrev_b32_e32 v10, v16, v21
	v_lshrrev_b32_e32 v7, 2, v15
	v_mul_f16_sdwa v6, v42, v11 dst_sel:DWORD dst_unused:UNUSED_PAD src0_sel:WORD_1 src1_sel:DWORD
	v_cmp_lt_i32_e32 vcc_lo, 5, v22
	v_cmp_eq_u32_e64 s0, 3, v22
	v_lshlrev_b32_e32 v8, v16, v10
	v_add_nc_u32_e32 v9, 0x1000, v38
	v_fma_f16 v11, v42, v19, -v6
	s_or_b32 vcc_lo, s0, vcc_lo
	v_add_co_ci_u32_e32 v14, vcc_lo, 0, v7, vcc_lo
	v_cmp_ne_u32_e32 vcc_lo, v8, v21
	ds_read2_b32 v[6:7], v9 offset0:32 offset1:164
	v_and_or_b32 v2, 0x1ff, v3, v2
	v_cvt_f32_f16_e32 v8, v11
	v_add_nc_u32_e32 v11, 0xfffffc10, v20
	v_cndmask_b32_e64 v15, 0, 1, vcc_lo
	v_cmp_gt_i32_e32 vcc_lo, 31, v17
	v_lshrrev_b32_e32 v16, 8, v3
	v_cvt_f64_f32_e32 v[8:9], v8
	v_bfe_u32 v18, v3, 20, 11
	v_or_b32_e32 v10, v10, v15
	v_cndmask_b32_e32 v14, 0x7c00, v14, vcc_lo
	v_cmp_ne_u32_e32 vcc_lo, 0, v2
	v_lshl_or_b32 v15, v11, 12, v0
	v_cndmask_b32_e64 v2, 0, 1, vcc_lo
	v_cmp_ne_u32_e32 vcc_lo, 0, v4
	v_and_or_b32 v2, 0xffe, v16, v2
	v_cndmask_b32_e64 v4, 0, 1, vcc_lo
	v_cmp_gt_i32_e32 vcc_lo, 1, v11
	s_waitcnt lgkmcnt(0)
	v_lshrrev_b32_e32 v16, 16, v6
	v_or_b32_e32 v20, 0x1000, v2
	v_lshl_or_b32 v4, v4, 9, 0x7c00
	v_cndmask_b32_e32 v10, v15, v10, vcc_lo
	v_sub_nc_u32_e32 v15, 0x3f1, v18
	v_cmp_eq_u32_e32 vcc_lo, 0x40f, v17
	v_mul_f16_sdwa v21, v41, v16 dst_sel:DWORD dst_unused:UNUSED_PAD src0_sel:WORD_1 src1_sel:DWORD
	v_mul_f64 v[8:9], v[8:9], s[6:7]
	v_and_b32_e32 v19, 7, v10
	v_med3_i32 v15, v15, 0, 13
	v_cndmask_b32_e32 v14, v14, v4, vcc_lo
	v_lshrrev_b32_e32 v4, 2, v10
	v_fmac_f16_e32 v21, v41, v6
	v_cmp_lt_i32_e32 vcc_lo, 5, v19
	v_cmp_eq_u32_e64 s0, 3, v19
	v_lshrrev_b32_e32 v17, v15, v20
	v_lshrrev_b32_e32 v19, 16, v5
	v_cvt_f32_f16_e32 v5, v21
	v_add_nc_u32_e32 v18, 0xfffffc10, v18
	s_or_b32 vcc_lo, s0, vcc_lo
	v_lshlrev_b32_e32 v10, v15, v17
	v_add_co_ci_u32_e32 v15, vcc_lo, 0, v4, vcc_lo
	v_cmp_ne_u32_e32 vcc_lo, 0, v0
	v_cvt_f64_f32_e32 v[4:5], v5
	v_mul_f16_sdwa v6, v41, v6 dst_sel:DWORD dst_unused:UNUSED_PAD src0_sel:WORD_1 src1_sel:DWORD
	v_cndmask_b32_e64 v0, 0, 1, vcc_lo
	v_cmp_ne_u32_e32 vcc_lo, v10, v20
	v_and_or_b32 v8, 0x1ff, v9, v8
	v_lshrrev_b32_e32 v20, 16, v1
	v_fma_f16 v6, v41, v16, -v6
	v_lshl_or_b32 v0, v0, 9, 0x7c00
	v_cndmask_b32_e64 v10, 0, 1, vcc_lo
	v_cmp_gt_i32_e32 vcc_lo, 31, v11
	v_or_b32_e32 v10, v17, v10
	v_cndmask_b32_e32 v15, 0x7c00, v15, vcc_lo
	v_cmp_eq_u32_e32 vcc_lo, 0x40f, v11
	v_lshl_or_b32 v17, v18, 12, v2
	v_cndmask_b32_e32 v11, v15, v0, vcc_lo
	v_cmp_gt_i32_e32 vcc_lo, 1, v18
	v_lshrrev_b32_e32 v15, 8, v9
	v_mul_f64 v[0:1], v[4:5], s[6:7]
	v_and_or_b32 v5, 0x8000, v19, v14
	v_and_or_b32 v11, 0x8000, v20, v11
	v_cndmask_b32_e32 v10, v17, v10, vcc_lo
	v_cmp_ne_u32_e32 vcc_lo, 0, v8
	v_bfe_u32 v17, v9, 20, 11
	v_and_b32_e32 v5, 0xffff, v5
	v_and_b32_e32 v21, 7, v10
	v_cndmask_b32_e64 v8, 0, 1, vcc_lo
	v_sub_nc_u32_e32 v4, 0x3f1, v17
	v_lshrrev_b32_e32 v10, 2, v10
	v_lshl_or_b32 v16, v11, 16, v5
	v_cmp_lt_i32_e32 vcc_lo, 5, v21
	v_and_or_b32 v8, 0xffe, v15, v8
	v_med3_i32 v4, v4, 0, 13
	v_cmp_eq_u32_e64 s0, 3, v21
	v_cvt_f32_f16_e32 v5, v6
	v_lshrrev_b32_e32 v21, 16, v7
	v_or_b32_e32 v14, 0x1000, v8
	s_or_b32 vcc_lo, s0, vcc_lo
	v_and_or_b32 v0, 0x1ff, v1, v0
	v_add_co_ci_u32_e32 v10, vcc_lo, 0, v10, vcc_lo
	v_lshrrev_b32_e32 v15, v4, v14
	v_cmp_gt_i32_e32 vcc_lo, 31, v18
	v_lshrrev_b32_e32 v11, 8, v1
	v_lshlrev_b32_e32 v4, v4, v15
	v_cndmask_b32_e32 v6, 0x7c00, v10, vcc_lo
	v_cmp_ne_u32_e32 vcc_lo, v4, v14
	v_cvt_f64_f32_e32 v[4:5], v5
	v_add_nc_u32_e32 v14, 0xfffffc10, v17
	v_bfe_u32 v17, v1, 20, 11
	v_cndmask_b32_e64 v10, 0, 1, vcc_lo
	v_cmp_ne_u32_e32 vcc_lo, 0, v0
	v_or_b32_e32 v10, v15, v10
	v_cndmask_b32_e64 v0, 0, 1, vcc_lo
	v_cmp_ne_u32_e32 vcc_lo, 0, v2
	v_lshl_or_b32 v15, v14, 12, v8
	v_and_or_b32 v0, 0xffe, v11, v0
	v_cndmask_b32_e64 v2, 0, 1, vcc_lo
	v_cmp_gt_i32_e32 vcc_lo, 1, v14
	v_sub_nc_u32_e32 v11, 0x3f1, v17
	v_lshl_or_b32 v2, v2, 9, 0x7c00
	v_cndmask_b32_e32 v10, v15, v10, vcc_lo
	v_cmp_eq_u32_e32 vcc_lo, 0x40f, v18
	v_or_b32_e32 v15, 0x1000, v0
	v_med3_i32 v11, v11, 0, 13
	v_lshrrev_b32_e32 v18, 16, v3
	v_and_b32_e32 v19, 7, v10
	v_cndmask_b32_e32 v6, v6, v2, vcc_lo
	v_mul_f64 v[2:3], v[4:5], s[6:7]
	v_lshrrev_b32_e32 v20, v11, v15
	v_add_co_u32 v4, vcc_lo, v12, s3
	v_mul_f16_sdwa v12, v40, v21 dst_sel:DWORD dst_unused:UNUSED_PAD src0_sel:WORD_1 src1_sel:DWORD
	v_add_co_ci_u32_e32 v5, vcc_lo, s2, v13, vcc_lo
	v_lshlrev_b32_e32 v11, v11, v20
	v_cmp_lt_i32_e32 vcc_lo, 5, v19
	v_cmp_eq_u32_e64 s0, 3, v19
	v_lshrrev_b32_e32 v10, 2, v10
	v_fmac_f16_e32 v12, v40, v7
	v_cmp_ne_u32_e64 s1, v11, v15
	v_add_nc_u32_e32 v13, 0xfffffc10, v17
	s_or_b32 vcc_lo, s0, vcc_lo
	v_and_or_b32 v6, 0x8000, v18, v6
	v_add_co_ci_u32_e32 v15, vcc_lo, 0, v10, vcc_lo
	v_cndmask_b32_e64 v11, 0, 1, s1
	v_cvt_f32_f16_e32 v12, v12
	v_cmp_ne_u32_e32 vcc_lo, 0, v8
	v_and_b32_e32 v6, 0xffff, v6
	v_and_or_b32 v2, 0x1ff, v3, v2
	v_or_b32_e32 v17, v20, v11
	v_cvt_f64_f32_e32 v[10:11], v12
	v_lshl_or_b32 v12, v13, 12, v0
	v_cndmask_b32_e64 v8, 0, 1, vcc_lo
	v_cmp_gt_i32_e32 vcc_lo, 1, v13
	v_bfe_u32 v18, v3, 20, 11
	v_mul_f16_sdwa v7, v40, v7 dst_sel:DWORD dst_unused:UNUSED_PAD src0_sel:WORD_1 src1_sel:DWORD
	v_lshl_or_b32 v8, v8, 9, 0x7c00
	v_cndmask_b32_e32 v12, v12, v17, vcc_lo
	v_cmp_ne_u32_e32 vcc_lo, 0, v2
	v_lshrrev_b32_e32 v17, 8, v3
	v_fma_f16 v7, v40, v21, -v7
	v_and_b32_e32 v19, 7, v12
	v_cndmask_b32_e64 v2, 0, 1, vcc_lo
	v_cmp_gt_i32_e32 vcc_lo, 31, v14
	v_lshrrev_b32_e32 v12, 2, v12
	v_cmp_eq_u32_e64 s0, 3, v19
	v_and_or_b32 v2, 0xffe, v17, v2
	v_cndmask_b32_e32 v15, 0x7c00, v15, vcc_lo
	v_cmp_eq_u32_e32 vcc_lo, 0x40f, v14
	v_lshrrev_b32_e32 v17, 16, v9
	v_or_b32_e32 v20, 0x1000, v2
	v_cndmask_b32_e32 v14, v15, v8, vcc_lo
	v_sub_nc_u32_e32 v15, 0x3f1, v18
	v_cmp_lt_i32_e32 vcc_lo, 5, v19
	v_mul_f64 v[8:9], v[10:11], s[6:7]
	v_and_or_b32 v11, 0x8000, v17, v14
	v_med3_i32 v10, v15, 0, 13
	s_or_b32 vcc_lo, s0, vcc_lo
	v_add_nc_u32_e32 v17, 0xfffffc10, v18
	v_add_co_ci_u32_e32 v12, vcc_lo, 0, v12, vcc_lo
	v_lshrrev_b32_e32 v14, v10, v20
	v_cmp_ne_u32_e32 vcc_lo, 0, v0
	v_lshl_or_b32 v15, v11, 16, v6
	v_lshl_or_b32 v11, v17, 12, v2
	v_lshrrev_b32_e32 v18, 16, v1
	v_lshlrev_b32_e32 v6, v10, v14
	v_cndmask_b32_e64 v0, 0, 1, vcc_lo
	v_cmp_gt_i32_e32 vcc_lo, 31, v13
	v_lshl_or_b32 v0, v0, 9, 0x7c00
	v_cndmask_b32_e32 v10, 0x7c00, v12, vcc_lo
	v_cmp_ne_u32_e32 vcc_lo, v6, v20
	ds_read_b32 v12, v38 offset:5280
	v_and_or_b32 v8, 0x1ff, v9, v8
	v_cndmask_b32_e64 v6, 0, 1, vcc_lo
	v_cmp_eq_u32_e32 vcc_lo, 0x40f, v13
	v_lshrrev_b32_e32 v13, 8, v9
	v_cndmask_b32_e32 v10, v10, v0, vcc_lo
	v_cmp_ne_u32_e32 vcc_lo, 0, v8
	v_or_b32_e32 v0, v14, v6
	v_cvt_f32_f16_e32 v6, v7
	v_bfe_u32 v14, v9, 20, 11
	v_and_or_b32 v18, 0x8000, v18, v10
	v_cndmask_b32_e64 v8, 0, 1, vcc_lo
	v_cmp_gt_i32_e32 vcc_lo, 1, v17
	v_cvt_f64_f32_e32 v[6:7], v6
	v_lshrrev_b32_e32 v9, 16, v9
	v_and_or_b32 v8, 0xffe, v13, v8
	v_cndmask_b32_e32 v11, v11, v0, vcc_lo
	v_sub_nc_u32_e32 v0, 0x3f1, v14
	s_waitcnt lgkmcnt(0)
	v_lshrrev_b32_e32 v13, 16, v12
	v_add_nc_u32_e32 v14, 0xfffffc10, v14
	v_or_b32_e32 v20, 0x1000, v8
	v_and_b32_e32 v19, 7, v11
	v_med3_i32 v21, v0, 0, 13
	v_mul_f16_sdwa v22, v39, v13 dst_sel:DWORD dst_unused:UNUSED_PAD src0_sel:WORD_1 src1_sel:DWORD
	v_add_co_u32 v0, vcc_lo, v4, s3
	v_add_co_ci_u32_e32 v1, vcc_lo, s2, v5, vcc_lo
	v_lshrrev_b32_e32 v23, v21, v20
	v_fmac_f16_e32 v22, v39, v12
	v_cmp_lt_i32_e32 vcc_lo, 5, v19
	v_cmp_eq_u32_e64 s0, 3, v19
	v_lshrrev_b32_e32 v10, 2, v11
	v_lshlrev_b32_e32 v19, v21, v23
	v_cvt_f32_f16_e32 v11, v22
	v_mul_f64 v[6:7], v[6:7], s[6:7]
	s_or_b32 vcc_lo, s0, vcc_lo
	v_mul_f16_sdwa v12, v39, v12 dst_sel:DWORD dst_unused:UNUSED_PAD src0_sel:WORD_1 src1_sel:DWORD
	v_add_co_ci_u32_e32 v21, vcc_lo, 0, v10, vcc_lo
	v_cmp_ne_u32_e32 vcc_lo, v19, v20
	v_cvt_f64_f32_e32 v[10:11], v11
	v_lshl_or_b32 v20, v14, 12, v8
	v_fma_f16 v12, v39, v13, -v12
	v_cndmask_b32_e64 v19, 0, 1, vcc_lo
	v_cmp_ne_u32_e32 vcc_lo, 0, v2
	v_cvt_f32_f16_e32 v12, v12
	v_or_b32_e32 v19, v23, v19
	v_cndmask_b32_e64 v2, 0, 1, vcc_lo
	v_cmp_gt_i32_e32 vcc_lo, 31, v17
	v_lshl_or_b32 v2, v2, 9, 0x7c00
	v_cndmask_b32_e32 v13, 0x7c00, v21, vcc_lo
	v_cmp_gt_i32_e32 vcc_lo, 1, v14
	v_and_or_b32 v6, 0x1ff, v7, v6
	v_bfe_u32 v21, v7, 20, 11
	v_cndmask_b32_e32 v19, v20, v19, vcc_lo
	v_cmp_eq_u32_e32 vcc_lo, 0x40f, v17
	v_mul_f64 v[10:11], v[10:11], s[6:7]
	v_lshrrev_b32_e32 v17, 16, v3
	v_lshrrev_b32_e32 v20, 8, v7
	;; [unrolled: 1-line block ×3, first 2 shown]
	v_cndmask_b32_e32 v13, v13, v2, vcc_lo
	v_cvt_f64_f32_e32 v[2:3], v12
	v_cmp_ne_u32_e32 vcc_lo, 0, v6
	v_and_b32_e32 v12, 7, v19
	v_and_or_b32 v13, 0x8000, v17, v13
	v_and_b32_e32 v17, 0xffff, v18
	v_cndmask_b32_e64 v6, 0, 1, vcc_lo
	v_cmp_lt_i32_e32 vcc_lo, 5, v12
	v_cmp_eq_u32_e64 s0, 3, v12
	v_sub_nc_u32_e32 v18, 0x3f1, v21
	v_lshl_or_b32 v12, v13, 16, v17
	v_lshrrev_b32_e32 v13, 2, v19
	v_and_or_b32 v6, 0xffe, v20, v6
	s_or_b32 vcc_lo, s0, vcc_lo
	v_med3_i32 v18, v18, 0, 13
	v_add_co_ci_u32_e32 v13, vcc_lo, 0, v13, vcc_lo
	v_or_b32_e32 v17, 0x1000, v6
	v_cmp_ne_u32_e32 vcc_lo, 0, v8
	v_and_or_b32 v10, 0x1ff, v11, v10
	v_lshrrev_b32_e32 v20, 8, v11
	v_mul_f64 v[2:3], v[2:3], s[6:7]
	v_lshrrev_b32_e32 v19, v18, v17
	v_cndmask_b32_e64 v8, 0, 1, vcc_lo
	v_cmp_gt_i32_e32 vcc_lo, 31, v14
	v_bfe_u32 v22, v11, 20, 11
	v_lshrrev_b32_e32 v11, 16, v11
	v_lshlrev_b32_e32 v18, v18, v19
	v_lshl_or_b32 v8, v8, 9, 0x7c00
	v_cndmask_b32_e32 v13, 0x7c00, v13, vcc_lo
	v_cmp_ne_u32_e32 vcc_lo, 0, v10
	v_cndmask_b32_e64 v10, 0, 1, vcc_lo
	v_cmp_ne_u32_e32 vcc_lo, v18, v17
	v_add_nc_u32_e32 v18, 0xfffffc10, v21
	v_and_or_b32 v10, 0xffe, v20, v10
	v_cndmask_b32_e64 v17, 0, 1, vcc_lo
	v_sub_nc_u32_e32 v20, 0x3f1, v22
	v_cmp_eq_u32_e32 vcc_lo, 0x40f, v14
	v_lshl_or_b32 v14, v18, 12, v6
	v_and_or_b32 v2, 0x1ff, v3, v2
	v_bfe_u32 v21, v3, 20, 11
	v_cndmask_b32_e32 v8, v13, v8, vcc_lo
	v_or_b32_e32 v13, v19, v17
	v_or_b32_e32 v17, 0x1000, v10
	v_med3_i32 v19, v20, 0, 13
	v_cmp_gt_i32_e32 vcc_lo, 1, v18
	v_lshrrev_b32_e32 v20, 8, v3
	v_and_or_b32 v8, 0x8000, v9, v8
	v_sub_nc_u32_e32 v9, 0x3f1, v21
	v_cndmask_b32_e32 v13, v14, v13, vcc_lo
	v_lshrrev_b32_e32 v14, v19, v17
	v_cmp_ne_u32_e32 vcc_lo, 0, v2
	v_med3_i32 v9, v9, 0, 13
	v_and_b32_e32 v23, 7, v13
	v_lshlrev_b32_e32 v19, v19, v14
	v_cndmask_b32_e64 v2, 0, 1, vcc_lo
	v_lshrrev_b32_e32 v13, 2, v13
	v_cmp_lt_i32_e32 vcc_lo, 5, v23
	v_cmp_ne_u32_e64 s0, v19, v17
	v_and_or_b32 v2, 0xffe, v20, v2
	v_add_nc_u32_e32 v20, 0xfffffc10, v22
	v_cndmask_b32_e64 v17, 0, 1, s0
	v_cmp_eq_u32_e64 s0, 3, v23
	v_or_b32_e32 v19, 0x1000, v2
	v_lshl_or_b32 v22, v20, 12, v10
	v_or_b32_e32 v14, v14, v17
	s_or_b32 vcc_lo, s0, vcc_lo
	v_lshrrev_b32_e32 v17, v9, v19
	v_add_co_ci_u32_e32 v13, vcc_lo, 0, v13, vcc_lo
	v_cmp_gt_i32_e32 vcc_lo, 1, v20
	v_lshlrev_b32_e32 v9, v9, v17
	v_cndmask_b32_e32 v14, v22, v14, vcc_lo
	v_cmp_ne_u32_e32 vcc_lo, 0, v6
	v_cndmask_b32_e64 v6, 0, 1, vcc_lo
	v_cmp_ne_u32_e32 vcc_lo, v9, v19
	v_add_nc_u32_e32 v19, 0xfffffc10, v21
	v_and_b32_e32 v21, 7, v14
	v_lshl_or_b32 v6, v6, 9, 0x7c00
	v_cndmask_b32_e64 v9, 0, 1, vcc_lo
	v_cmp_gt_i32_e32 vcc_lo, 31, v18
	v_cmp_gt_i32_e64 s1, 1, v19
	v_cmp_eq_u32_e64 s0, 3, v21
	v_or_b32_e32 v9, v17, v9
	v_lshl_or_b32 v17, v19, 12, v2
	v_cndmask_b32_e32 v13, 0x7c00, v13, vcc_lo
	v_cmp_lt_i32_e32 vcc_lo, 5, v21
	v_cndmask_b32_e64 v9, v17, v9, s1
	v_cmp_eq_u32_e64 s1, 0x40f, v18
	s_or_b32 vcc_lo, s0, vcc_lo
	v_cndmask_b32_e64 v6, v13, v6, s1
	v_lshrrev_b32_e32 v13, 2, v14
	v_and_b32_e32 v14, 7, v9
	v_lshrrev_b32_e32 v9, 2, v9
	v_cmp_gt_i32_e64 s1, 31, v20
	v_and_or_b32 v6, 0x8000, v7, v6
	v_add_co_ci_u32_e32 v13, vcc_lo, 0, v13, vcc_lo
	v_cmp_ne_u32_e32 vcc_lo, 0, v10
	v_cmp_eq_u32_e64 s0, 3, v14
	v_and_b32_e32 v7, 0xffff, v8
	v_cndmask_b32_e64 v13, 0x7c00, v13, s1
	v_cndmask_b32_e64 v10, 0, 1, vcc_lo
	v_cmp_lt_i32_e32 vcc_lo, 5, v14
	v_lshl_or_b32 v10, v10, 9, 0x7c00
	s_or_b32 vcc_lo, s0, vcc_lo
	v_add_co_ci_u32_e32 v9, vcc_lo, 0, v9, vcc_lo
	v_cmp_ne_u32_e32 vcc_lo, 0, v2
	v_cndmask_b32_e64 v2, 0, 1, vcc_lo
	v_cmp_eq_u32_e32 vcc_lo, 0x40f, v20
	v_lshl_or_b32 v2, v2, 9, 0x7c00
	v_cndmask_b32_e32 v10, v13, v10, vcc_lo
	v_cmp_gt_i32_e32 vcc_lo, 31, v19
	v_and_or_b32 v8, 0x8000, v11, v10
	v_cndmask_b32_e32 v9, 0x7c00, v9, vcc_lo
	v_cmp_eq_u32_e32 vcc_lo, 0x40f, v19
	v_lshrrev_b32_e32 v10, 16, v3
	v_lshl_or_b32 v11, v6, 16, v7
	v_and_b32_e32 v8, 0xffff, v8
	v_cndmask_b32_e32 v9, v9, v2, vcc_lo
	v_add_co_u32 v2, vcc_lo, v0, s3
	v_add_co_ci_u32_e32 v3, vcc_lo, s2, v1, vcc_lo
	v_and_or_b32 v9, 0x8000, v10, v9
	v_add_co_u32 v6, vcc_lo, v2, s3
	v_add_co_ci_u32_e32 v7, vcc_lo, s2, v3, vcc_lo
	v_lshl_or_b32 v10, v9, 16, v8
	v_add_co_u32 v8, vcc_lo, v6, s3
	v_add_co_ci_u32_e32 v9, vcc_lo, s2, v7, vcc_lo
	global_store_dword v[4:5], v16, off
	global_store_dword v[0:1], v15, off
	global_store_dword v[2:3], v12, off
	global_store_dword v[6:7], v11, off
	global_store_dword v[8:9], v10, off
.LBB0_18:
	s_endpgm
	.section	.rodata,"a",@progbits
	.p2align	6, 0x0
	.amdhsa_kernel bluestein_single_fwd_len1452_dim1_half_op_CI_CI
		.amdhsa_group_segment_fixed_size 5808
		.amdhsa_private_segment_fixed_size 0
		.amdhsa_kernarg_size 104
		.amdhsa_user_sgpr_count 6
		.amdhsa_user_sgpr_private_segment_buffer 1
		.amdhsa_user_sgpr_dispatch_ptr 0
		.amdhsa_user_sgpr_queue_ptr 0
		.amdhsa_user_sgpr_kernarg_segment_ptr 1
		.amdhsa_user_sgpr_dispatch_id 0
		.amdhsa_user_sgpr_flat_scratch_init 0
		.amdhsa_user_sgpr_private_segment_size 0
		.amdhsa_wavefront_size32 1
		.amdhsa_uses_dynamic_stack 0
		.amdhsa_system_sgpr_private_segment_wavefront_offset 0
		.amdhsa_system_sgpr_workgroup_id_x 1
		.amdhsa_system_sgpr_workgroup_id_y 0
		.amdhsa_system_sgpr_workgroup_id_z 0
		.amdhsa_system_sgpr_workgroup_info 0
		.amdhsa_system_vgpr_workitem_id 0
		.amdhsa_next_free_vgpr 168
		.amdhsa_next_free_sgpr 20
		.amdhsa_reserve_vcc 1
		.amdhsa_reserve_flat_scratch 0
		.amdhsa_float_round_mode_32 0
		.amdhsa_float_round_mode_16_64 0
		.amdhsa_float_denorm_mode_32 3
		.amdhsa_float_denorm_mode_16_64 3
		.amdhsa_dx10_clamp 1
		.amdhsa_ieee_mode 1
		.amdhsa_fp16_overflow 0
		.amdhsa_workgroup_processor_mode 1
		.amdhsa_memory_ordered 1
		.amdhsa_forward_progress 0
		.amdhsa_shared_vgpr_count 0
		.amdhsa_exception_fp_ieee_invalid_op 0
		.amdhsa_exception_fp_denorm_src 0
		.amdhsa_exception_fp_ieee_div_zero 0
		.amdhsa_exception_fp_ieee_overflow 0
		.amdhsa_exception_fp_ieee_underflow 0
		.amdhsa_exception_fp_ieee_inexact 0
		.amdhsa_exception_int_div_zero 0
	.end_amdhsa_kernel
	.text
.Lfunc_end0:
	.size	bluestein_single_fwd_len1452_dim1_half_op_CI_CI, .Lfunc_end0-bluestein_single_fwd_len1452_dim1_half_op_CI_CI
                                        ; -- End function
	.section	.AMDGPU.csdata,"",@progbits
; Kernel info:
; codeLenInByte = 21912
; NumSgprs: 22
; NumVgprs: 168
; ScratchSize: 0
; MemoryBound: 0
; FloatMode: 240
; IeeeMode: 1
; LDSByteSize: 5808 bytes/workgroup (compile time only)
; SGPRBlocks: 2
; VGPRBlocks: 20
; NumSGPRsForWavesPerEU: 22
; NumVGPRsForWavesPerEU: 168
; Occupancy: 5
; WaveLimiterHint : 1
; COMPUTE_PGM_RSRC2:SCRATCH_EN: 0
; COMPUTE_PGM_RSRC2:USER_SGPR: 6
; COMPUTE_PGM_RSRC2:TRAP_HANDLER: 0
; COMPUTE_PGM_RSRC2:TGID_X_EN: 1
; COMPUTE_PGM_RSRC2:TGID_Y_EN: 0
; COMPUTE_PGM_RSRC2:TGID_Z_EN: 0
; COMPUTE_PGM_RSRC2:TIDIG_COMP_CNT: 0
	.text
	.p2alignl 6, 3214868480
	.fill 48, 4, 3214868480
	.type	__hip_cuid_d0c7b01d885a1ce8,@object ; @__hip_cuid_d0c7b01d885a1ce8
	.section	.bss,"aw",@nobits
	.globl	__hip_cuid_d0c7b01d885a1ce8
__hip_cuid_d0c7b01d885a1ce8:
	.byte	0                               ; 0x0
	.size	__hip_cuid_d0c7b01d885a1ce8, 1

	.ident	"AMD clang version 19.0.0git (https://github.com/RadeonOpenCompute/llvm-project roc-6.4.0 25133 c7fe45cf4b819c5991fe208aaa96edf142730f1d)"
	.section	".note.GNU-stack","",@progbits
	.addrsig
	.addrsig_sym __hip_cuid_d0c7b01d885a1ce8
	.amdgpu_metadata
---
amdhsa.kernels:
  - .args:
      - .actual_access:  read_only
        .address_space:  global
        .offset:         0
        .size:           8
        .value_kind:     global_buffer
      - .actual_access:  read_only
        .address_space:  global
        .offset:         8
        .size:           8
        .value_kind:     global_buffer
      - .actual_access:  read_only
        .address_space:  global
        .offset:         16
        .size:           8
        .value_kind:     global_buffer
      - .actual_access:  read_only
        .address_space:  global
        .offset:         24
        .size:           8
        .value_kind:     global_buffer
      - .actual_access:  read_only
        .address_space:  global
        .offset:         32
        .size:           8
        .value_kind:     global_buffer
      - .offset:         40
        .size:           8
        .value_kind:     by_value
      - .address_space:  global
        .offset:         48
        .size:           8
        .value_kind:     global_buffer
      - .address_space:  global
        .offset:         56
        .size:           8
        .value_kind:     global_buffer
      - .address_space:  global
        .offset:         64
        .size:           8
        .value_kind:     global_buffer
      - .address_space:  global
        .offset:         72
        .size:           8
        .value_kind:     global_buffer
      - .offset:         80
        .size:           4
        .value_kind:     by_value
      - .address_space:  global
        .offset:         88
        .size:           8
        .value_kind:     global_buffer
      - .address_space:  global
        .offset:         96
        .size:           8
        .value_kind:     global_buffer
    .group_segment_fixed_size: 5808
    .kernarg_segment_align: 8
    .kernarg_segment_size: 104
    .language:       OpenCL C
    .language_version:
      - 2
      - 0
    .max_flat_workgroup_size: 132
    .name:           bluestein_single_fwd_len1452_dim1_half_op_CI_CI
    .private_segment_fixed_size: 0
    .sgpr_count:     22
    .sgpr_spill_count: 0
    .symbol:         bluestein_single_fwd_len1452_dim1_half_op_CI_CI.kd
    .uniform_work_group_size: 1
    .uses_dynamic_stack: false
    .vgpr_count:     168
    .vgpr_spill_count: 0
    .wavefront_size: 32
    .workgroup_processor_mode: 1
amdhsa.target:   amdgcn-amd-amdhsa--gfx1030
amdhsa.version:
  - 1
  - 2
...

	.end_amdgpu_metadata
